;; amdgpu-corpus repo=ROCm/aiter kind=harvested arch=n/a opt=n/a

/root/src/amdgpu-assembly/repos/ROCm__aiter/hsa/gfx950/fmoe/gelu/fmoe_bf16_pertokenMXfp4_g1u1_gelu_1tg_32x512.co:	file format elf64-amdgpu

Disassembly of section .text:

0000000000002e00 <_ZN5aiter44fmoe_bf16_pertokenMXfp4_g1u1_gelu_1tg_32x512E>:
	s_and_b32 s1, s1, 0xffff                                   // 000000002E00: 8601FF01 0000FFFF
	s_load_dwordx2 s[8:9], s[0:1], 0x0                         // 000000002E08: C0060200 00000000
	s_load_dwordx2 s[20:21], s[0:1], 0x10                      // 000000002E10: C0060500 00000010
	s_load_dwordx2 s[24:25], s[0:1], 0x20                      // 000000002E18: C0060600 00000020
	s_load_dwordx2 s[50:51], s[0:1], 0x30                      // 000000002E20: C0060C80 00000030
	s_load_dwordx2 s[12:13], s[0:1], 0x40                      // 000000002E28: C0060300 00000040
	s_load_dwordx2 s[28:29], s[0:1], 0x50                      // 000000002E30: C0060700 00000050
	s_load_dwordx2 s[32:33], s[0:1], 0x60                      // 000000002E38: C0060800 00000060
	s_load_dwordx2 s[16:17], s[0:1], 0x70                      // 000000002E40: C0060400 00000070
	s_load_dwordx2 s[36:37], s[0:1], 0x80                      // 000000002E48: C0060900 00000080
	s_load_dwordx2 s[44:45], s[0:1], 0x90                      // 000000002E50: C0060B00 00000090
	s_load_dwordx2 s[40:41], s[0:1], 0xa0                      // 000000002E58: C0060A00 000000A0
	s_load_dwordx2 s[46:47], s[0:1], 0xb0                      // 000000002E60: C0060B80 000000B0
	s_load_dword s64, s[0:1], 0xc0                             // 000000002E68: C0021000 000000C0
	s_load_dword s65, s[0:1], 0xd0                             // 000000002E70: C0021040 000000D0
	s_load_dword s66, s[0:1], 0xe0                             // 000000002E78: C0021080 000000E0
	s_load_dword s67, s[0:1], 0xf0                             // 000000002E80: C00210C0 000000F0
	s_load_dword s68, s[0:1], 0x100                            // 000000002E88: C0021100 00000100
	s_load_dword s69, s[0:1], 0x110                            // 000000002E90: C0021140 00000110
	s_load_dword s70, s[0:1], 0x120                            // 000000002E98: C0021180 00000120
	s_load_dword s71, s[0:1], 0x130                            // 000000002EA0: C00211C0 00000130
	s_load_dword s72, s[0:1], 0x140                            // 000000002EA8: C0021200 00000140
	s_load_dword s73, s[0:1], 0x150                            // 000000002EB0: C0021240 00000150
	s_load_dword s74, s[0:1], 0x160                            // 000000002EB8: C0021280 00000160
	s_load_dword s75, s[0:1], 0x170                            // 000000002EC0: C00212C0 00000170
	s_load_dword s76, s[0:1], 0x180                            // 000000002EC8: C0021300 00000180
	v_lshrrev_b32_e32 v1, 10, v0                               // 000000002ED0: 2002008A
	v_lshrrev_b32_e32 v2, 10, v1                               // 000000002ED4: 2004028A
	v_and_b32_e32 v2, 0x3ff, v2                                // 000000002ED8: 260404FF 000003FF
	v_and_b32_e32 v1, 0x3ff, v1                                // 000000002EE0: 260202FF 000003FF
	v_and_b32_e32 v0, 0x3ff, v0                                // 000000002EE8: 260000FF 000003FF
	v_lshrrev_b32_e32 v3, 6, v0                                // 000000002EF0: 20060086
	v_and_b32_e32 v0, 63, v0                                   // 000000002EF4: 260000BF
	s_mov_b32 s2, s2                                           // 000000002EF8: BE820002
	s_mov_b32 s3, s3                                           // 000000002EFC: BE830003
	s_mov_b32 s4, s4                                           // 000000002F00: BE840004
	v_readfirstlane_b32 s7, v3                                 // 000000002F04: 7E0E0503
	s_waitcnt lgkmcnt(0)                                       // 000000002F08: BF8CC07F
	s_and_b32 s51, s51, 0xffff                                 // 000000002F0C: 8633FF33 0000FFFF
	s_load_dword s50, s[50:51], 0x0                            // 000000002F14: C0020C99 00000000
	s_and_b32 s45, s45, 0xffff                                 // 000000002F1C: 862DFF2D 0000FFFF
	s_and_b32 s47, s47, 0xffff                                 // 000000002F24: 862FFF2F 0000FFFF
	s_and_b32 s9, s9, 0xffff                                   // 000000002F2C: 8609FF09 0000FFFF
	s_mul_i32 s60, s66, s68                                    // 000000002F34: 923C4442
	s_mov_b32 s22, s60                                         // 000000002F38: BE96003C
	s_mov_b32 s26, -16                                         // 000000002F3C: BE9A00D0
	s_mov_b32 s14, -16                                         // 000000002F40: BE8E00D0
	s_mov_b32 s42, -16                                         // 000000002F44: BEAA00D0
	s_mov_b32 s30, -16                                         // 000000002F48: BE9E00D0
	s_mov_b32 s34, -16                                         // 000000002F4C: BEA200D0
	s_mov_b32 s38, -16                                         // 000000002F50: BEA600D0
	s_mov_b32 s18, -16                                         // 000000002F54: BE9200D0
	s_mul_i32 s60, s66, s71                                    // 000000002F58: 923C4742
	s_mov_b32 s10, s60                                         // 000000002F5C: BE8A003C
	s_mov_b32 s23, 0x20000                                     // 000000002F60: BE9700FF 00020000
	s_mov_b32 s27, 0x20000                                     // 000000002F68: BE9B00FF 00020000
	s_mov_b32 s15, 0x20000                                     // 000000002F70: BE8F00FF 00020000
	s_mov_b32 s43, 0x20000                                     // 000000002F78: BEAB00FF 00020000
	s_mov_b32 s31, 0x20000                                     // 000000002F80: BE9F00FF 00020000
	s_mov_b32 s35, 0x20000                                     // 000000002F88: BEA300FF 00020000
	s_mov_b32 s39, 0x20000                                     // 000000002F90: BEA700FF 00020000
	s_mov_b32 s19, 0x20000                                     // 000000002F98: BE9300FF 00020000
	s_mov_b32 s11, 0x20000                                     // 000000002FA0: BE8B00FF 00020000
	s_and_b32 s21, s21, 0xffff                                 // 000000002FA8: 8615FF15 0000FFFF
	s_and_b32 s25, s25, 0xffff                                 // 000000002FB0: 8619FF19 0000FFFF
	s_and_b32 s13, s13, 0xffff                                 // 000000002FB8: 860DFF0D 0000FFFF
	s_and_b32 s41, s41, 0xffff                                 // 000000002FC0: 8629FF29 0000FFFF
	s_and_b32 s29, s29, 0xffff                                 // 000000002FC8: 861DFF1D 0000FFFF
	s_and_b32 s33, s33, 0xffff                                 // 000000002FD0: 8621FF21 0000FFFF
	s_and_b32 s37, s37, 0xffff                                 // 000000002FD8: 8625FF25 0000FFFF
	s_and_b32 s17, s17, 0xffff                                 // 000000002FE0: 8611FF11 0000FFFF
	s_or_b32 s21, s21, 0x40000                                 // 000000002FE8: 8715FF15 00040000
	s_or_b32 s25, s25, 0x40000                                 // 000000002FF0: 8719FF19 00040000
	s_or_b32 s13, s13, 0x40000                                 // 000000002FF8: 870DFF0D 00040000
	s_or_b32 s41, s41, 0x40000                                 // 000000003000: 8729FF29 00040000
	s_or_b32 s29, s29, 0x40000                                 // 000000003008: 871DFF1D 00040000
	s_or_b32 s33, s33, 0x40000                                 // 000000003010: 8721FF21 00040000
	s_or_b32 s37, s37, 0x40000                                 // 000000003018: 8725FF25 00040000
	s_or_b32 s17, s17, 0x40000                                 // 000000003020: 8711FF11 00040000
	v_accvgpr_write_b32 a127, 0                                // 000000003028: D3D9407F 18000080
	v_mov_b32_e32 v223, 0                                      // 000000003030: 7FBE0280
	s_waitcnt lgkmcnt(0)                                       // 000000003034: BF8CC07F
	s_mul_i32 s60, s3, 32                                      // 000000003038: 923CA003
	s_cmp_lt_i32 s60, s50                                      // 00000000303C: BF04323C
	s_cbranch_scc0 label_1CBA                                  // 000000003040: BF841C29
	s_mov_b32 s80, 0                                           // 000000003044: BED00080
	s_mov_b32 s81, s64                                         // 000000003048: BED10040
	s_mul_i32 s60, s3, 4                                       // 00000000304C: 923C8403
	s_add_u32 s46, s60, s46                                    // 000000003050: 802E2E3C
	s_addc_u32 s47, 0, s47                                     // 000000003054: 822F2F80
	s_load_dword s5, s[46:47], 0x0                             // 000000003058: C0020157 00000000
	s_mul_i32 s60, s3, 32                                      // 000000003060: 923CA003
	s_lshr_b32 s61, s7, 1                                      // 000000003064: 8F3D8107
	s_mul_i32 s61, s61, 8                                      // 000000003068: 923D883D
	s_add_u32 s60, s61, s60                                    // 00000000306C: 803C3C3D
	s_and_b32 s61, s7, 1                                       // 000000003070: 863D8107
	s_mul_i32 s61, s61, 2                                      // 000000003074: 923D823D
	s_add_u32 s60, s61, s60                                    // 000000003078: 803C3C3D
	s_mul_i32 s60, 4, s60                                      // 00000000307C: 923C3C84
	s_add_u32 s44, s60, s44                                    // 000000003080: 802C2C3C
	s_addc_u32 s45, 0, s45                                     // 000000003084: 822D2D80
	s_load_dword s82, s[44:45], 0x0                            // 000000003088: C0021496 00000000
	s_load_dword s83, s[44:45], 0x4                            // 000000003090: C00214D6 00000004
	s_load_dword s84, s[44:45], 0x10                           // 000000003098: C0021516 00000010
	s_load_dword s85, s[44:45], 0x14                           // 0000000030A0: C0021556 00000014
	s_load_dword s86, s[44:45], 0x40                           // 0000000030A8: C0021596 00000040
	s_load_dword s87, s[44:45], 0x44                           // 0000000030B0: C00215D6 00000044
	s_load_dword s88, s[44:45], 0x50                           // 0000000030B8: C0021616 00000050
	s_load_dword s89, s[44:45], 0x54                           // 0000000030C0: C0021656 00000054
	s_waitcnt lgkmcnt(0)                                       // 0000000030C8: BF8CC07F
	s_and_b32 s82, s82, 0xffffff                               // 0000000030CC: 8652FF52 00FFFFFF
	s_mul_i32 s62, s82, s68                                    // 0000000030D4: 923E4452
	s_lshl_b32 s60, 0xff, 0                                    // 0000000030D8: 8E3C80FF 000000FF
	s_mov_b32 s61, 0                                           // 0000000030E0: BEBD0080
	s_mov_b64 exec, s[60:61]                                   // 0000000030E4: BEFE013C
	v_mov_b32_e32 v51, s62                                     // 0000000030E8: 7E66023E
	s_and_b32 s83, s83, 0xffffff                               // 0000000030EC: 8653FF53 00FFFFFF
	s_mul_i32 s62, s83, s68                                    // 0000000030F4: 923E4453
	s_lshl_b32 s60, 0xff, 8                                    // 0000000030F8: 8E3C88FF 000000FF
	s_mov_b64 exec, s[60:61]                                   // 000000003100: BEFE013C
	v_mov_b32_e32 v51, s62                                     // 000000003104: 7E66023E
	s_and_b32 s84, s84, 0xffffff                               // 000000003108: 8654FF54 00FFFFFF
	s_mul_i32 s62, s84, s68                                    // 000000003110: 923E4454
	s_lshl_b32 s60, 0xff, 16                                   // 000000003114: 8E3C90FF 000000FF
	s_mov_b64 exec, s[60:61]                                   // 00000000311C: BEFE013C
	v_mov_b32_e32 v51, s62                                     // 000000003120: 7E66023E
	s_and_b32 s85, s85, 0xffffff                               // 000000003124: 8655FF55 00FFFFFF
	s_mul_i32 s62, s85, s68                                    // 00000000312C: 923E4455
	s_lshl_b32 s60, 0xff, 24                                   // 000000003130: 8E3C98FF 000000FF
	s_mov_b64 exec, s[60:61]                                   // 000000003138: BEFE013C
	v_mov_b32_e32 v51, s62                                     // 00000000313C: 7E66023E
	s_and_b32 s86, s86, 0xffffff                               // 000000003140: 8656FF56 00FFFFFF
	s_mul_i32 s62, s86, s68                                    // 000000003148: 923E4456
	s_lshl_b32 s61, 0xff, 0                                    // 00000000314C: 8E3D80FF 000000FF
	s_mov_b32 s60, 0                                           // 000000003154: BEBC0080
	s_mov_b64 exec, s[60:61]                                   // 000000003158: BEFE013C
	v_mov_b32_e32 v51, s62                                     // 00000000315C: 7E66023E
	s_and_b32 s87, s87, 0xffffff                               // 000000003160: 8657FF57 00FFFFFF
	s_mul_i32 s62, s87, s68                                    // 000000003168: 923E4457
	s_lshl_b32 s61, 0xff, 8                                    // 00000000316C: 8E3D88FF 000000FF
	s_mov_b64 exec, s[60:61]                                   // 000000003174: BEFE013C
	v_mov_b32_e32 v51, s62                                     // 000000003178: 7E66023E
	s_and_b32 s88, s88, 0xffffff                               // 00000000317C: 8658FF58 00FFFFFF
	s_mul_i32 s62, s88, s68                                    // 000000003184: 923E4458
	s_lshl_b32 s61, 0xff, 16                                   // 000000003188: 8E3D90FF 000000FF
	s_mov_b64 exec, s[60:61]                                   // 000000003190: BEFE013C
	v_mov_b32_e32 v51, s62                                     // 000000003194: 7E66023E
	s_and_b32 s89, s89, 0xffffff                               // 000000003198: 8659FF59 00FFFFFF
	s_mul_i32 s62, s89, s68                                    // 0000000031A0: 923E4459
	s_lshl_b32 s61, 0xff, 24                                   // 0000000031A4: 8E3D98FF 000000FF
	s_mov_b64 exec, s[60:61]                                   // 0000000031AC: BEFE013C
	v_mov_b32_e32 v51, s62                                     // 0000000031B0: 7E66023E
	s_mov_b32 s60, -1                                          // 0000000031B4: BEBC00C1
	s_mov_b32 s61, -1                                          // 0000000031B8: BEBD00C1
	s_mov_b64 exec, s[60:61]                                   // 0000000031BC: BEFE013C
	v_and_b32_e64 v2, v0, 7                                    // 0000000031C0: D1130002 00010F00
	v_lshlrev_b32_e32 v2, 4, v2                                // 0000000031C8: 24040484
	v_add_u32_e32 v51, v51, v2                                 // 0000000031CC: 68660533
	s_mov_b32 s62, 0x80                                        // 0000000031D0: BEBE00FF 00000080
	v_add_u32_e64 v52, v51, s62                                // 0000000031D8: D1340034 00007D33
	v_lshlrev_b32_e32 v2, 2, v0                                // 0000000031E0: 24040082
	s_mul_i32 s60, s82, s71                                    // 0000000031E4: 923C4752
	v_add_u32_e64 v144, v2, s60                                // 0000000031E8: D1340090 00007902
	v_mov_b32_e32 v145, 0                                      // 0000000031F0: 7F220280
	s_mul_i32 s60, s83, s71                                    // 0000000031F4: 923C4753
	v_add_u32_e64 v146, v2, s60                                // 0000000031F8: D1340092 00007902
	v_mov_b32_e32 v147, 0                                      // 000000003200: 7F260280
	s_mul_i32 s60, s84, s71                                    // 000000003204: 923C4754
	v_add_u32_e64 v148, v2, s60                                // 000000003208: D1340094 00007902
	v_mov_b32_e32 v149, 0                                      // 000000003210: 7F2A0280
	s_mul_i32 s60, s85, s71                                    // 000000003214: 923C4755
	v_add_u32_e64 v150, v2, s60                                // 000000003218: D1340096 00007902
	v_mov_b32_e32 v151, 0                                      // 000000003220: 7F2E0280
	s_mul_i32 s60, s86, s71                                    // 000000003224: 923C4756
	v_add_u32_e64 v152, v2, s60                                // 000000003228: D1340098 00007902
	v_mov_b32_e32 v153, 0                                      // 000000003230: 7F320280
	s_mul_i32 s60, s87, s71                                    // 000000003234: 923C4757
	v_add_u32_e64 v154, v2, s60                                // 000000003238: D134009A 00007902
	v_mov_b32_e32 v155, 0                                      // 000000003240: 7F360280
	s_mul_i32 s60, s88, s71                                    // 000000003244: 923C4758
	v_add_u32_e64 v156, v2, s60                                // 000000003248: D134009C 00007902
	v_mov_b32_e32 v157, 0                                      // 000000003250: 7F3A0280
	s_mul_i32 s60, s89, s71                                    // 000000003254: 923C4759
	v_add_u32_e64 v158, v2, s60                                // 000000003258: D134009E 00007902
	v_mov_b32_e32 v159, 0                                      // 000000003260: 7F3E0280
	s_mul_i32 s60, s7, 0x420                                   // 000000003264: 923CFF07 00000420
	s_add_u32 s50, 0, s60                                      // 00000000326C: 80323C80
	s_add_u32 s51, 0x1080, s50                                 // 000000003270: 803332FF 00001080
	v_and_b32_e32 v2, 15, v0                                   // 000000003278: 2604008F
	v_lshrrev_b32_e32 v3, 3, v2                                // 00000000327C: 20060483
	v_mul_lo_u32 v3, 2, v3                                     // 000000003280: D2850003 00020682
	v_and_b32_e32 v2, 3, v0                                    // 000000003288: 26040083
	v_lshrrev_b32_e32 v4, 1, v2                                // 00000000328C: 20080481
	v_add_u32_e32 v2, v3, v4                                   // 000000003290: 68040903
	v_mul_i32_i24_e32 v6, 0x420, v2                            // 000000003294: 0C0C04FF 00000420
	v_and_b32_e32 v2, 7, v0                                    // 00000000329C: 26040087
	v_lshrrev_b32_e32 v3, 2, v2                                // 0000000032A0: 20060482
	v_mul_i32_i24_e32 v3, 0x100, v3                            // 0000000032A4: 0C0606FF 00000100
	v_and_b32_e32 v2, 1, v0                                    // 0000000032AC: 26040081
	v_mul_i32_i24_e32 v4, 0x80, v2                             // 0000000032B0: 0C0804FF 00000080
	v_add_u32_e32 v6, v3, v6                                   // 0000000032B8: 680C0D03
	v_add_u32_e32 v6, v4, v6                                   // 0000000032BC: 680C0D04
	v_lshrrev_b32_e32 v2, 4, v0                                // 0000000032C0: 20040084
	v_mul_lo_u32 v2, 16, v2                                    // 0000000032C4: D2850002 00020490
	v_add_u32_e32 v6, v2, v6                                   // 0000000032CC: 680C0D02
	s_mul_i32 s60, s2, 0x200                                   // 0000000032D0: 923CFF02 00000200
	s_mul_i32 s60, s60, s69                                    // 0000000032D8: 923C453C
	s_mul_i32 s61, s5, s72                                     // 0000000032DC: 923D4805
	s_add_u32 s60, s61, s60                                    // 0000000032E0: 803C3C3D
	s_add_u32 s24, s60, s24                                    // 0000000032E4: 8018183C
	s_addc_u32 s25, 0, s25                                     // 0000000032E8: 82191980
	s_mul_i32 s60, s7, 32                                      // 0000000032EC: 923CA007
	s_mul_i32 s60, s60, s69                                    // 0000000032F0: 923C453C
	v_lshlrev_b32_e32 v52, 4, v0                               // 0000000032F4: 24680084
	v_add_u32_e32 v52, s60, v52                                // 0000000032F8: 6868683C
	s_mul_i32 s60, 16, s69                                     // 0000000032FC: 923C4590
	v_add_u32_e32 v53, s60, v52                                // 000000003300: 686A683C
	s_mul_i32 s60, 0x80, s69                                   // 000000003304: 923C45FF 00000080
	v_add_u32_e32 v54, s60, v52                                // 00000000330C: 686C683C
	v_add_u32_e32 v55, s60, v53                                // 000000003310: 686E6A3C
	v_add_u32_e32 v56, s60, v54                                // 000000003314: 68706C3C
	v_add_u32_e32 v57, s60, v55                                // 000000003318: 68726E3C
	v_add_u32_e32 v58, s60, v56                                // 00000000331C: 6874703C
	v_add_u32_e32 v59, s60, v57                                // 000000003320: 6876723C
	s_mov_b32 s92, s24                                         // 000000003324: BEDC0018
	s_mov_b32 s93, s25                                         // 000000003328: BEDD0019
	s_mov_b32 s94, s26                                         // 00000000332C: BEDE001A
	s_mov_b32 s95, s27                                         // 000000003330: BEDF001B
	s_mul_i32 s60, s69, s65                                    // 000000003334: 923C4145
	s_add_u32 s92, s60, s92                                    // 000000003338: 805C5C3C
	s_addc_u32 s93, 0, s93                                     // 00000000333C: 825D5D80
	s_mul_i32 s60, s2, 0x1000                                  // 000000003340: 923CFF02 00001000
	s_mul_i32 s61, s5, s73                                     // 000000003348: 923D4905
	s_add_u32 s60, s61, s60                                    // 00000000334C: 803C3C3D
	s_add_u32 s12, s60, s12                                    // 000000003350: 800C0C3C
	s_addc_u32 s13, 0, s13                                     // 000000003354: 820D0D80
	s_mul_i32 s60, s7, 32                                      // 000000003358: 923CA007
	s_mul_i32 s60, s60, s70                                    // 00000000335C: 923C463C
	v_lshlrev_b32_e32 v60, 4, v0                               // 000000003360: 24780084
	v_add_u32_e32 v60, s60, v60                                // 000000003364: 6878783C
	s_mul_i32 s60, 16, s70                                     // 000000003368: 923C4690
	v_add_u32_e32 v61, s60, v60                                // 00000000336C: 687A783C
	s_mul_i32 s60, 0x80, s70                                   // 000000003370: 923C46FF 00000080
	v_add_u32_e32 v62, s60, v60                                // 000000003378: 687C783C
	v_add_u32_e32 v63, s60, v61                                // 00000000337C: 687E7A3C
	s_mul_i32 s56, s70, 0x100                                  // 000000003380: 9238FF46 00000100
	s_mul_i32 s60, s3, 32                                      // 000000003388: 923CA003
	s_mul_i32 s60, 4, s60                                      // 00000000338C: 923C3C84
	s_add_u32 s40, s60, s40                                    // 000000003390: 8028283C
	s_addc_u32 s41, 0, s41                                     // 000000003394: 82292980
	v_and_b32_e32 v2, 15, v0                                   // 000000003398: 2604008F
	v_lshlrev_b32_e32 v13, 2, v2                               // 00000000339C: 241A0482
	v_add_u32_e32 v14, 64, v13                                 // 0000000033A0: 681C1AC0
	s_mov_b32 s4, 0x100                                        // 0000000033A4: BE8400FF 00000100
	v_lshlrev_b32_e32 v15, 2, v0                               // 0000000033AC: 241E0082
	s_lshr_b32 s61, s64, 5                                     // 0000000033B0: 8F3D8540
	s_mul_i32 s60, s7, 32                                      // 0000000033B4: 923CA007
	s_mul_i32 s60, s61, s60                                    // 0000000033B8: 923C3C3D
	v_add_u32_e64 v15, v15, s60                                // 0000000033BC: D134000F 0000790F
	s_mul_i32 s60, s65, s61                                    // 0000000033C4: 923C3D41
	v_add_u32_e64 v19, v15, s60                                // 0000000033C8: D1340013 0000790F
	s_mul_i32 s60, s61, 0x80                                   // 0000000033D0: 923CFF3D 00000080
	v_add_u32_e64 v16, v15, s60                                // 0000000033D8: D1340010 0000790F
	v_add_u32_e64 v20, v19, s60                                // 0000000033E0: D1340014 00007913
	v_add_u32_e64 v17, v16, s60                                // 0000000033E8: D1340011 00007910
	v_add_u32_e64 v21, v20, s60                                // 0000000033F0: D1340015 00007914
	v_add_u32_e64 v18, v17, s60                                // 0000000033F8: D1340012 00007911
	v_add_u32_e64 v22, v21, s60                                // 000000003400: D1340016 00007915
	s_mul_i32 s60, s2, 0x200                                   // 000000003408: 923CFF02 00000200
	s_mul_i32 s60, s60, s61                                    // 000000003410: 923C3D3C
	s_mul_i32 s61, s5, s74                                     // 000000003414: 923D4A05
	s_add_u32 s61, s61, s60                                    // 000000003418: 803D3C3D
	s_add_u32 s32, s61, s32                                    // 00000000341C: 8020203D
	s_addc_u32 s33, 0, s33                                     // 000000003420: 82212180
	v_lshlrev_b32_e32 v10, 2, v0                               // 000000003424: 24140082
	s_lshr_b32 s60, s65, 5                                     // 000000003428: 8F3C8541
	s_mul_i32 s61, s7, 32                                      // 00000000342C: 923DA007
	s_mul_i32 s61, s61, s60                                    // 000000003430: 923D3C3D
	v_add_u32_e32 v10, s61, v10                                // 000000003434: 6814143D
	s_mul_i32 s60, s60, 0x80                                   // 000000003438: 923CFF3C 00000080
	v_add_u32_e64 v11, v10, s60                                // 000000003440: D134000B 0000790A
	s_mul_i32 s60, s2, 0x200                                   // 000000003448: 923CFF02 00000200
	s_mul_i32 s61, s5, s75                                     // 000000003450: 923D4B05
	s_add_u32 s60, s60, s61                                    // 000000003454: 803C3D3C
	s_add_u32 s16, s60, s16                                    // 000000003458: 8010103C
	s_addc_u32 s17, 0, s17                                     // 00000000345C: 82111180
	s_mov_b32 s57, 0x80                                        // 000000003460: BEB900FF 00000080
	s_mov_b32 s58, 0x800                                       // 000000003468: BEBA00FF 00000800
	s_lshr_b32 s60, s65, 5                                     // 000000003470: 8F3C8541
	s_mul_i32 s79, s60, 0x100                                  // 000000003474: 924FFF3C 00000100
	s_mov_b32 s59, 0                                           // 00000000347C: BEBB0080
	s_mov_b32 s90, s58                                         // 000000003480: BEDA003A
	s_mov_b32 s52, 0x7060302                                   // 000000003484: BEB400FF 07060302
	s_mov_b32 s53, 0x400                                       // 00000000348C: BEB500FF 00000400
	s_mov_b32 s54, 0x40100                                     // 000000003494: BEB600FF 00040100
	s_mov_b32 s55, 0x4020100                                   // 00000000349C: BEB700FF 04020100
	s_mov_b32 s6, 0x3fb8aa3b                                   // 0000000034A4: BE8600FF 3FB8AA3B
	s_mov_b32 s77, 0xbd92220c                                  // 0000000034AC: BECD00FF BD92220C
	s_mov_b32 m0, s50                                          // 0000000034B4: BEFC0032
	s_mul_i32 s60, s3, 32                                      // 0000000034B8: 923CA003
	s_mul_i32 s60, s64, s60                                    // 0000000034BC: 923C3C40
	s_lshr_b32 s60, s60, 5                                     // 0000000034C0: 8F3C853C
	s_add_u32 s28, s60, s28                                    // 0000000034C4: 801C1C3C
	s_addc_u32 s29, 0, s29                                     // 0000000034C8: 821D1D80
	v_lshlrev_b32_e32 v12, 2, v0                               // 0000000034CC: 24180082
	s_mov_b32 s3, 0x100                                        // 0000000034D0: BE8300FF 00000100
	buffer_load_dword v25, v15, s[32:35], 0 offen              // 0000000034D8: E0501000 8008190F
	buffer_load_dword v26, v16, s[32:35], 0 offen              // 0000000034E0: E0501000 80081A10
	buffer_load_dword v27, v17, s[32:35], 0 offen              // 0000000034E8: E0501000 80081B11
	buffer_load_dword v28, v18, s[32:35], 0 offen              // 0000000034F0: E0501000 80081C12
	buffer_load_dword v41, v13, s[40:43], 0 offen              // 0000000034F8: E0501000 800A290D
	buffer_load_dword v42, v14, s[40:43], 0 offen              // 000000003500: E0501000 800A2A0E
	buffer_load_dwordx4 v51, s[20:23], 0 offen lds             // 000000003508: E05D1000 80050033
	s_add_u32 m0, 0, s51                                       // 000000003510: 807C3380
	buffer_load_dword v23, v12, s[28:31], 0 offen              // 000000003514: E0501000 8007170C
	s_add_u32 s20, s57, s20                                    // 00000000351C: 80141439
	s_addc_u32 s21, 0, s21                                     // 000000003520: 82151580
	s_add_u32 s28, s3, s28                                     // 000000003524: 801C1C03
	s_addc_u32 s29, 0, s29                                     // 000000003528: 821D1D80
	buffer_load_dwordx4 a[0:3], v52, s[24:27], 0 offen         // 00000000352C: E05C1000 80860034
	buffer_load_dwordx4 a[4:7], v53, s[24:27], 0 offen         // 000000003534: E05C1000 80860435
	buffer_load_dwordx4 a[8:11], v54, s[24:27], 0 offen        // 00000000353C: E05C1000 80860836
	buffer_load_dwordx4 a[12:15], v55, s[24:27], 0 offen       // 000000003544: E05C1000 80860C37
	buffer_load_dwordx4 a[16:19], v56, s[24:27], 0 offen       // 00000000354C: E05C1000 80861038
	buffer_load_dwordx4 a[20:23], v57, s[24:27], 0 offen       // 000000003554: E05C1000 80861439
	buffer_load_dwordx4 a[24:27], v58, s[24:27], 0 offen       // 00000000355C: E05C1000 8086183A
	buffer_load_dwordx4 a[28:31], v59, s[24:27], 0 offen       // 000000003564: E05C1000 80861C3B
	buffer_load_dwordx4 a[32:35], v52, s[24:27], 0 offen offset:1024// 00000000356C: E05C1400 80862034
	buffer_load_dwordx4 a[36:39], v53, s[24:27], 0 offen offset:1024// 000000003574: E05C1400 80862435
	buffer_load_dwordx4 a[40:43], v54, s[24:27], 0 offen offset:1024// 00000000357C: E05C1400 80862836
	buffer_load_dwordx4 a[44:47], v55, s[24:27], 0 offen offset:1024// 000000003584: E05C1400 80862C37
	buffer_load_dwordx4 a[48:51], v56, s[24:27], 0 offen offset:1024// 00000000358C: E05C1400 80863038
	buffer_load_dwordx4 a[52:55], v57, s[24:27], 0 offen offset:1024// 000000003594: E05C1400 80863439
	buffer_load_dwordx4 a[56:59], v58, s[24:27], 0 offen offset:1024// 00000000359C: E05C1400 8086383A
	buffer_load_dwordx4 a[60:63], v59, s[24:27], 0 offen offset:1024// 0000000035A4: E05C1400 80863C3B
	s_add_u32 s24, s58, s24                                    // 0000000035AC: 8018183A
	s_addc_u32 s25, 0, s25                                     // 0000000035B0: 82191980
	v_mov_b32_e32 v64, 0                                       // 0000000035B4: 7E800280
	v_mov_b32_e32 v128, 0                                      // 0000000035B8: 7F000280
	v_mov_b32_e32 v65, 0                                       // 0000000035BC: 7E820280
	v_mov_b32_e32 v129, 0                                      // 0000000035C0: 7F020280
	v_mov_b32_e32 v66, 0                                       // 0000000035C4: 7E840280
	v_mov_b32_e32 v130, 0                                      // 0000000035C8: 7F040280
	v_mov_b32_e32 v67, 0                                       // 0000000035CC: 7E860280
	v_mov_b32_e32 v131, 0                                      // 0000000035D0: 7F060280
	v_mov_b32_e32 v68, 0                                       // 0000000035D4: 7E880280
	v_mov_b32_e32 v132, 0                                      // 0000000035D8: 7F080280
	v_mov_b32_e32 v69, 0                                       // 0000000035DC: 7E8A0280
	v_mov_b32_e32 v133, 0                                      // 0000000035E0: 7F0A0280
	v_mov_b32_e32 v70, 0                                       // 0000000035E4: 7E8C0280
	v_mov_b32_e32 v134, 0                                      // 0000000035E8: 7F0C0280
	v_mov_b32_e32 v71, 0                                       // 0000000035EC: 7E8E0280
	v_mov_b32_e32 v135, 0                                      // 0000000035F0: 7F0E0280
	v_mov_b32_e32 v72, 0                                       // 0000000035F4: 7E900280
	v_mov_b32_e32 v136, 0                                      // 0000000035F8: 7F100280
	v_mov_b32_e32 v73, 0                                       // 0000000035FC: 7E920280
	v_mov_b32_e32 v137, 0                                      // 000000003600: 7F120280
	v_mov_b32_e32 v74, 0                                       // 000000003604: 7E940280
	v_mov_b32_e32 v138, 0                                      // 000000003608: 7F140280
	v_mov_b32_e32 v75, 0                                       // 00000000360C: 7E960280
	v_mov_b32_e32 v139, 0                                      // 000000003610: 7F160280
	v_mov_b32_e32 v76, 0                                       // 000000003614: 7E980280
	v_mov_b32_e32 v140, 0                                      // 000000003618: 7F180280
	v_mov_b32_e32 v77, 0                                       // 00000000361C: 7E9A0280
	v_mov_b32_e32 v141, 0                                      // 000000003620: 7F1A0280
	v_mov_b32_e32 v78, 0                                       // 000000003624: 7E9C0280
	v_mov_b32_e32 v142, 0                                      // 000000003628: 7F1C0280
	v_mov_b32_e32 v79, 0                                       // 00000000362C: 7E9E0280
	v_mov_b32_e32 v143, 0                                      // 000000003630: 7F1E0280
	v_mov_b32_e32 v80, 0                                       // 000000003634: 7EA00280
	v_mov_b32_e32 v144, 0                                      // 000000003638: 7F200280
	v_mov_b32_e32 v81, 0                                       // 00000000363C: 7EA20280
	v_mov_b32_e32 v145, 0                                      // 000000003640: 7F220280
	v_mov_b32_e32 v82, 0                                       // 000000003644: 7EA40280
	v_mov_b32_e32 v146, 0                                      // 000000003648: 7F240280
	v_mov_b32_e32 v83, 0                                       // 00000000364C: 7EA60280
	v_mov_b32_e32 v147, 0                                      // 000000003650: 7F260280
	v_mov_b32_e32 v84, 0                                       // 000000003654: 7EA80280
	v_mov_b32_e32 v148, 0                                      // 000000003658: 7F280280
	v_mov_b32_e32 v85, 0                                       // 00000000365C: 7EAA0280
	v_mov_b32_e32 v149, 0                                      // 000000003660: 7F2A0280
	v_mov_b32_e32 v86, 0                                       // 000000003664: 7EAC0280
	v_mov_b32_e32 v150, 0                                      // 000000003668: 7F2C0280
	v_mov_b32_e32 v87, 0                                       // 00000000366C: 7EAE0280
	v_mov_b32_e32 v151, 0                                      // 000000003670: 7F2E0280
	v_mov_b32_e32 v88, 0                                       // 000000003674: 7EB00280
	v_mov_b32_e32 v152, 0                                      // 000000003678: 7F300280
	v_mov_b32_e32 v89, 0                                       // 00000000367C: 7EB20280
	v_mov_b32_e32 v153, 0                                      // 000000003680: 7F320280
	v_mov_b32_e32 v90, 0                                       // 000000003684: 7EB40280
	v_mov_b32_e32 v154, 0                                      // 000000003688: 7F340280
	v_mov_b32_e32 v91, 0                                       // 00000000368C: 7EB60280
	v_mov_b32_e32 v155, 0                                      // 000000003690: 7F360280
	v_mov_b32_e32 v92, 0                                       // 000000003694: 7EB80280
	v_mov_b32_e32 v156, 0                                      // 000000003698: 7F380280
	v_mov_b32_e32 v93, 0                                       // 00000000369C: 7EBA0280
	v_mov_b32_e32 v157, 0                                      // 0000000036A0: 7F3A0280
	v_mov_b32_e32 v94, 0                                       // 0000000036A4: 7EBC0280
	v_mov_b32_e32 v158, 0                                      // 0000000036A8: 7F3C0280
	v_mov_b32_e32 v95, 0                                       // 0000000036AC: 7EBE0280
	v_mov_b32_e32 v159, 0                                      // 0000000036B0: 7F3E0280
	v_mov_b32_e32 v96, 0                                       // 0000000036B4: 7EC00280
	v_mov_b32_e32 v160, 0                                      // 0000000036B8: 7F400280
	v_mov_b32_e32 v97, 0                                       // 0000000036BC: 7EC20280
	v_mov_b32_e32 v161, 0                                      // 0000000036C0: 7F420280
	v_mov_b32_e32 v98, 0                                       // 0000000036C4: 7EC40280
	v_mov_b32_e32 v162, 0                                      // 0000000036C8: 7F440280
	v_mov_b32_e32 v99, 0                                       // 0000000036CC: 7EC60280
	v_mov_b32_e32 v163, 0                                      // 0000000036D0: 7F460280
	v_mov_b32_e32 v100, 0                                      // 0000000036D4: 7EC80280
	v_mov_b32_e32 v164, 0                                      // 0000000036D8: 7F480280
	v_mov_b32_e32 v101, 0                                      // 0000000036DC: 7ECA0280
	v_mov_b32_e32 v165, 0                                      // 0000000036E0: 7F4A0280
	v_mov_b32_e32 v102, 0                                      // 0000000036E4: 7ECC0280
	v_mov_b32_e32 v166, 0                                      // 0000000036E8: 7F4C0280
	v_mov_b32_e32 v103, 0                                      // 0000000036EC: 7ECE0280
	v_mov_b32_e32 v167, 0                                      // 0000000036F0: 7F4E0280
	v_mov_b32_e32 v104, 0                                      // 0000000036F4: 7ED00280
	v_mov_b32_e32 v168, 0                                      // 0000000036F8: 7F500280
	v_mov_b32_e32 v105, 0                                      // 0000000036FC: 7ED20280
	v_mov_b32_e32 v169, 0                                      // 000000003700: 7F520280
	v_mov_b32_e32 v106, 0                                      // 000000003704: 7ED40280
	v_mov_b32_e32 v170, 0                                      // 000000003708: 7F540280
	v_mov_b32_e32 v107, 0                                      // 00000000370C: 7ED60280
	v_mov_b32_e32 v171, 0                                      // 000000003710: 7F560280
	v_mov_b32_e32 v108, 0                                      // 000000003714: 7ED80280
	v_mov_b32_e32 v172, 0                                      // 000000003718: 7F580280
	v_mov_b32_e32 v109, 0                                      // 00000000371C: 7EDA0280
	v_mov_b32_e32 v173, 0                                      // 000000003720: 7F5A0280
	v_mov_b32_e32 v110, 0                                      // 000000003724: 7EDC0280
	v_mov_b32_e32 v174, 0                                      // 000000003728: 7F5C0280
	v_mov_b32_e32 v111, 0                                      // 00000000372C: 7EDE0280
	v_mov_b32_e32 v175, 0                                      // 000000003730: 7F5E0280
	v_mov_b32_e32 v112, 0                                      // 000000003734: 7EE00280
	v_mov_b32_e32 v176, 0                                      // 000000003738: 7F600280
	v_mov_b32_e32 v113, 0                                      // 00000000373C: 7EE20280
	v_mov_b32_e32 v177, 0                                      // 000000003740: 7F620280
	v_mov_b32_e32 v114, 0                                      // 000000003744: 7EE40280
	v_mov_b32_e32 v178, 0                                      // 000000003748: 7F640280
	v_mov_b32_e32 v115, 0                                      // 00000000374C: 7EE60280
	v_mov_b32_e32 v179, 0                                      // 000000003750: 7F660280
	v_mov_b32_e32 v116, 0                                      // 000000003754: 7EE80280
	v_mov_b32_e32 v180, 0                                      // 000000003758: 7F680280
	v_mov_b32_e32 v117, 0                                      // 00000000375C: 7EEA0280
	v_mov_b32_e32 v181, 0                                      // 000000003760: 7F6A0280
	v_mov_b32_e32 v118, 0                                      // 000000003764: 7EEC0280
	v_mov_b32_e32 v182, 0                                      // 000000003768: 7F6C0280
	v_mov_b32_e32 v119, 0                                      // 00000000376C: 7EEE0280
	v_mov_b32_e32 v183, 0                                      // 000000003770: 7F6E0280
	v_mov_b32_e32 v120, 0                                      // 000000003774: 7EF00280
	v_mov_b32_e32 v184, 0                                      // 000000003778: 7F700280
	v_mov_b32_e32 v121, 0                                      // 00000000377C: 7EF20280
	v_mov_b32_e32 v185, 0                                      // 000000003780: 7F720280
	v_mov_b32_e32 v122, 0                                      // 000000003784: 7EF40280
	v_mov_b32_e32 v186, 0                                      // 000000003788: 7F740280
	v_mov_b32_e32 v123, 0                                      // 00000000378C: 7EF60280
	v_mov_b32_e32 v187, 0                                      // 000000003790: 7F760280
	v_mov_b32_e32 v124, 0                                      // 000000003794: 7EF80280
	v_mov_b32_e32 v188, 0                                      // 000000003798: 7F780280
	v_mov_b32_e32 v125, 0                                      // 00000000379C: 7EFA0280
	v_mov_b32_e32 v189, 0                                      // 0000000037A0: 7F7A0280
	v_mov_b32_e32 v126, 0                                      // 0000000037A4: 7EFC0280
	v_mov_b32_e32 v190, 0                                      // 0000000037A8: 7F7C0280
	v_mov_b32_e32 v127, 0                                      // 0000000037AC: 7EFE0280
	v_mov_b32_e32 v191, 0                                      // 0000000037B0: 7F7E0280
	v_lshrrev_b32_e32 v2, 4, v0                                // 0000000037B4: 20040084
	v_mul_lo_u32 v8, 34, v2                                    // 0000000037B8: D2850008 000204A2
	v_and_b32_e32 v2, 15, v0                                   // 0000000037C0: 2604008F
	v_mul_lo_u32 v3, 2, v2                                     // 0000000037C4: D2850003 00020482
	v_add_u32_e32 v8, v3, v8                                   // 0000000037CC: 68101103
	s_mul_i32 s60, s7, 0x110                                   // 0000000037D0: 923CFF07 00000110
	v_add_u32_e32 v8, s60, v8                                  // 0000000037D8: 6810103C
	v_lshlrev_b32_e32 v8, 2, v8                                // 0000000037DC: 24101082
	v_lshrrev_b32_e32 v2, 1, v0                                // 0000000037E0: 20040081
	v_mul_lo_u32 v9, 34, v2                                    // 0000000037E4: D2850009 000204A2
	v_and_b32_e32 v3, 1, v0                                    // 0000000037EC: 26060081
	v_add_u32_e32 v9, v3, v9                                   // 0000000037F0: 68121303
	s_lshr_b32 s60, s7, 1                                      // 0000000037F4: 8F3C8107
	s_mul_i32 s60, s60, 8                                      // 0000000037F8: 923C883C
	s_and_b32 s61, s7, 1                                       // 0000000037FC: 863D8107
	s_mul_i32 s61, s61, 2                                      // 000000003800: 923D823D
	s_add_u32 s60, s61, s60                                    // 000000003804: 803C3C3D
	s_mul_i32 s60, 2, s60                                      // 000000003808: 923C3C82
	v_add_u32_e32 v9, s60, v9                                  // 00000000380C: 6812123C
	v_lshlrev_b32_e32 v9, 2, v9                                // 000000003810: 24121282
	s_waitcnt vmcnt(16)                                        // 000000003814: BF8C4F70
	s_barrier                                                  // 000000003818: BF8A0000
	ds_read_b128 v[192:195], v6                                // 00000000381C: D9FE0000 C0000006
	ds_read_b128 v[196:199], v6 offset:64                      // 000000003824: D9FE0040 C4000006
	ds_read_b128 v[200:203], v6 offset:512                     // 00000000382C: D9FE0200 C8000006
	ds_read_b128 v[204:207], v6 offset:576                     // 000000003834: D9FE0240 CC000006
	s_cmp_lt_i32 s7, 2                                         // 00000000383C: BF048207
	s_cbranch_scc0 label_0EFE                                  // 000000003840: BF840C6D

0000000000003844 <label_0291>:
	s_waitcnt vmcnt(14) lgkmcnt(0)                             // 000000003844: BF8C007E
	s_barrier                                                  // 000000003848: BF8A0000
	v_mfma_scale_f32_16x16x128_f8f6f4 v[64:67], a[0:3], v[192:195], v[64:67], v25, v23 op_sel_hi:[0,0,0] cbsz:4 blgp:4// 00000000384C: D3AC6000 00022F19 D3AD0C40 8D038100
	v_mfma_scale_f32_16x16x128_f8f6f4 v[96:99], a[0:3], v[200:203], v[96:99], v25, v23 op_sel_hi:[0,0,0] cbsz:4 blgp:4// 00000000385C: D3AC7000 00022F19 D3AD0C60 8D839100
	buffer_load_dwordx4 a[64:67], v52, s[92:95], 0 offen       // 00000000386C: E05C1000 80974034
	buffer_load_dwordx4 v51, s[20:23], 0 offen lds             // 000000003874: E05D1000 80050033
	s_add_u32 m0, 0, s50                                       // 00000000387C: 807C3280
	v_mfma_scale_f32_16x16x128_f8f6f4 v[68:71], a[4:7], v[192:195], v[68:71], v25, v23 op_sel_hi:[0,0,0] cbsz:4 blgp:4// 000000003880: D3AC6800 00022F19 D3AD0C44 8D138104
	v_mfma_scale_f32_16x16x128_f8f6f4 v[100:103], a[4:7], v[200:203], v[100:103], v25, v23 op_sel_hi:[0,0,0] cbsz:4 blgp:4// 000000003890: D3AC7800 00022F19 D3AD0C64 8D939104
	buffer_load_dwordx4 a[68:71], v53, s[92:95], 0 offen       // 0000000038A0: E05C1000 80974435
	buffer_load_dword v24, v12, s[28:31], 0 offen              // 0000000038A8: E0501000 8007180C
	buffer_load_dword v33, v19, s[32:35], 0 offen              // 0000000038B0: E0501000 80082113
	buffer_load_dword v34, v20, s[32:35], 0 offen              // 0000000038B8: E0501000 80082214
	buffer_load_dword v35, v21, s[32:35], 0 offen              // 0000000038C0: E0501000 80082315
	buffer_load_dword v36, v22, s[32:35], 0 offen              // 0000000038C8: E0501000 80082416
	s_waitcnt vmcnt(20)                                        // 0000000038D0: BF8C4F74
	v_mfma_scale_f32_16x16x128_f8f6f4 v[72:75], a[8:11], v[192:195], v[72:75], v26, v23 op_sel_hi:[0,0,0] cbsz:4 blgp:4// 0000000038D4: D3AC6000 00022F1A D3AD0C48 8D238108
	v_mfma_scale_f32_16x16x128_f8f6f4 v[104:107], a[8:11], v[200:203], v[104:107], v26, v23 op_sel_hi:[0,0,0] cbsz:4 blgp:4// 0000000038E4: D3AC7000 00022F1A D3AD0C68 8DA39108
	buffer_load_dwordx4 a[72:75], v54, s[92:95], 0 offen       // 0000000038F4: E05C1000 80974836
	v_mfma_scale_f32_16x16x128_f8f6f4 v[76:79], a[12:15], v[192:195], v[76:79], v26, v23 op_sel_hi:[0,0,0] cbsz:4 blgp:4// 0000000038FC: D3AC6800 00022F1A D3AD0C4C 8D33810C
	v_mfma_scale_f32_16x16x128_f8f6f4 v[108:111], a[12:15], v[200:203], v[108:111], v26, v23 op_sel_hi:[0,0,0] cbsz:4 blgp:4// 00000000390C: D3AC7800 00022F1A D3AD0C6C 8DB3910C
	buffer_load_dwordx4 a[76:79], v55, s[92:95], 0 offen       // 00000000391C: E05C1000 80974C37
	s_waitcnt vmcnt(20)                                        // 000000003924: BF8C4F74
	v_mfma_scale_f32_16x16x128_f8f6f4 v[80:83], a[16:19], v[192:195], v[80:83], v27, v23 op_sel_hi:[0,0,0] cbsz:4 blgp:4// 000000003928: D3AC6000 00022F1B D3AD0C50 8D438110
	v_mfma_scale_f32_16x16x128_f8f6f4 v[112:115], a[16:19], v[200:203], v[112:115], v27, v23 op_sel_hi:[0,0,0] cbsz:4 blgp:4// 000000003938: D3AC7000 00022F1B D3AD0C70 8DC39110
	buffer_load_dwordx4 a[80:83], v56, s[92:95], 0 offen       // 000000003948: E05C1000 80975038
	v_mfma_scale_f32_16x16x128_f8f6f4 v[84:87], a[20:23], v[192:195], v[84:87], v27, v23 op_sel_hi:[0,0,0] cbsz:4 blgp:4// 000000003950: D3AC6800 00022F1B D3AD0C54 8D538114
	v_mfma_scale_f32_16x16x128_f8f6f4 v[116:119], a[20:23], v[200:203], v[116:119], v27, v23 op_sel_hi:[0,0,0] cbsz:4 blgp:4// 000000003960: D3AC7800 00022F1B D3AD0C74 8DD39114
	buffer_load_dwordx4 a[84:87], v57, s[92:95], 0 offen       // 000000003970: E05C1000 80975439
	s_waitcnt vmcnt(20)                                        // 000000003978: BF8C4F74
	v_mfma_scale_f32_16x16x128_f8f6f4 v[88:91], a[24:27], v[192:195], v[88:91], v28, v23 op_sel_hi:[0,0,0] cbsz:4 blgp:4// 00000000397C: D3AC6000 00022F1C D3AD0C58 8D638118
	v_mfma_scale_f32_16x16x128_f8f6f4 v[120:123], a[24:27], v[200:203], v[120:123], v28, v23 op_sel_hi:[0,0,0] cbsz:4 blgp:4// 00000000398C: D3AC7000 00022F1C D3AD0C78 8DE39118
	buffer_load_dwordx4 a[88:91], v58, s[92:95], 0 offen       // 00000000399C: E05C1000 8097583A
	v_mfma_scale_f32_16x16x128_f8f6f4 v[92:95], a[28:31], v[192:195], v[92:95], v28, v23 op_sel_hi:[0,0,0] cbsz:4 blgp:4// 0000000039A4: D3AC6800 00022F1C D3AD0C5C 8D73811C
	v_mfma_scale_f32_16x16x128_f8f6f4 v[124:127], a[28:31], v[200:203], v[124:127], v28, v23 op_sel_hi:[0,0,0] cbsz:4 blgp:4// 0000000039B4: D3AC7800 00022F1C D3AD0C7C 8DF3911C
	buffer_load_dwordx4 a[92:95], v59, s[92:95], 0 offen       // 0000000039C4: E05C1000 80975C3B
	s_nop 0                                                    // 0000000039CC: BF800000
	s_waitcnt vmcnt(20)                                        // 0000000039D0: BF8C4F74
	v_mfma_scale_f32_16x16x128_f8f6f4 v[64:67], a[32:35], v[196:199], v[64:67], v25, v23 op_sel_hi:[0,0,0] cbsz:4 blgp:4// 0000000039D4: D3AC6000 18022F19 D3AD0C40 8D038920
	v_mfma_scale_f32_16x16x128_f8f6f4 v[96:99], a[32:35], v[204:207], v[96:99], v25, v23 op_sel_hi:[0,0,0] cbsz:4 blgp:4// 0000000039E4: D3AC7000 18022F19 D3AD0C60 8D839920
	buffer_load_dwordx4 a[96:99], v52, s[92:95], 0 offen offset:1024// 0000000039F4: E05C1400 80976034
	v_mfma_scale_f32_16x16x128_f8f6f4 v[68:71], a[36:39], v[196:199], v[68:71], v25, v23 op_sel_hi:[0,0,0] cbsz:4 blgp:4// 0000000039FC: D3AC6800 18022F19 D3AD0C44 8D138924
	v_mfma_scale_f32_16x16x128_f8f6f4 v[100:103], a[36:39], v[204:207], v[100:103], v25, v23 op_sel_hi:[0,0,0] cbsz:4 blgp:4// 000000003A0C: D3AC7800 18022F19 D3AD0C64 8D939924
	buffer_load_dwordx4 a[100:103], v53, s[92:95], 0 offen offset:1024// 000000003A1C: E05C1400 80976435
	s_waitcnt vmcnt(20)                                        // 000000003A24: BF8C4F74
	v_mfma_scale_f32_16x16x128_f8f6f4 v[72:75], a[40:43], v[196:199], v[72:75], v26, v23 op_sel_hi:[0,0,0] cbsz:4 blgp:4// 000000003A28: D3AC6000 18022F1A D3AD0C48 8D238928
	v_mfma_scale_f32_16x16x128_f8f6f4 v[104:107], a[40:43], v[204:207], v[104:107], v26, v23 op_sel_hi:[0,0,0] cbsz:4 blgp:4// 000000003A38: D3AC7000 18022F1A D3AD0C68 8DA39928
	buffer_load_dwordx4 a[104:107], v54, s[92:95], 0 offen offset:1024// 000000003A48: E05C1400 80976836
	v_mfma_scale_f32_16x16x128_f8f6f4 v[76:79], a[44:47], v[196:199], v[76:79], v26, v23 op_sel_hi:[0,0,0] cbsz:4 blgp:4// 000000003A50: D3AC6800 18022F1A D3AD0C4C 8D33892C
	v_mfma_scale_f32_16x16x128_f8f6f4 v[108:111], a[44:47], v[204:207], v[108:111], v26, v23 op_sel_hi:[0,0,0] cbsz:4 blgp:4// 000000003A60: D3AC7800 18022F1A D3AD0C6C 8DB3992C
	buffer_load_dwordx4 a[108:111], v55, s[92:95], 0 offen offset:1024// 000000003A70: E05C1400 80976C37
	s_waitcnt vmcnt(20)                                        // 000000003A78: BF8C4F74
	v_mfma_scale_f32_16x16x128_f8f6f4 v[80:83], a[48:51], v[196:199], v[80:83], v27, v23 op_sel_hi:[0,0,0] cbsz:4 blgp:4// 000000003A7C: D3AC6000 18022F1B D3AD0C50 8D438930
	v_mfma_scale_f32_16x16x128_f8f6f4 v[112:115], a[48:51], v[204:207], v[112:115], v27, v23 op_sel_hi:[0,0,0] cbsz:4 blgp:4// 000000003A8C: D3AC7000 18022F1B D3AD0C70 8DC39930
	buffer_load_dwordx4 a[112:115], v56, s[92:95], 0 offen offset:1024// 000000003A9C: E05C1400 80977038
	v_mfma_scale_f32_16x16x128_f8f6f4 v[84:87], a[52:55], v[196:199], v[84:87], v27, v23 op_sel_hi:[0,0,0] cbsz:4 blgp:4// 000000003AA4: D3AC6800 18022F1B D3AD0C54 8D538934
	v_mfma_scale_f32_16x16x128_f8f6f4 v[116:119], a[52:55], v[204:207], v[116:119], v27, v23 op_sel_hi:[0,0,0] cbsz:4 blgp:4// 000000003AB4: D3AC7800 18022F1B D3AD0C74 8DD39934
	buffer_load_dwordx4 a[116:119], v57, s[92:95], 0 offen offset:1024// 000000003AC4: E05C1400 80977439
	s_waitcnt vmcnt(20)                                        // 000000003ACC: BF8C4F74
	v_mfma_scale_f32_16x16x128_f8f6f4 v[88:91], a[56:59], v[196:199], v[88:91], v28, v23 op_sel_hi:[0,0,0] cbsz:4 blgp:4// 000000003AD0: D3AC6000 18022F1C D3AD0C58 8D638938
	v_mfma_scale_f32_16x16x128_f8f6f4 v[120:123], a[56:59], v[204:207], v[120:123], v28, v23 op_sel_hi:[0,0,0] cbsz:4 blgp:4// 000000003AE0: D3AC7000 18022F1C D3AD0C78 8DE39938
	buffer_load_dwordx4 a[120:123], v58, s[92:95], 0 offen offset:1024// 000000003AF0: E05C1400 8097783A
	v_mfma_scale_f32_16x16x128_f8f6f4 v[92:95], a[60:63], v[196:199], v[92:95], v28, v23 op_sel_hi:[0,0,0] cbsz:4 blgp:4// 000000003AF8: D3AC6800 18022F1C D3AD0C5C 8D73893C
	v_mfma_scale_f32_16x16x128_f8f6f4 v[124:127], a[60:63], v[204:207], v[124:127], v28, v23 op_sel_hi:[0,0,0] cbsz:4 blgp:4// 000000003B08: D3AC7800 18022F1C D3AD0C7C 8DF3993C
	buffer_load_dwordx4 a[124:127], v59, s[92:95], 0 offen offset:1024// 000000003B18: E05C1400 80977C3B
	s_add_u32 s60, 0x100, s80                                  // 000000003B20: 803C50FF 00000100
	s_cmp_lt_u32 s60, s81                                      // 000000003B28: BF0A513C
	s_cselect_b32 s4, s4, 0                                    // 000000003B2C: 85048004
	s_add_u32 s32, s4, s32                                     // 000000003B30: 80202004
	s_addc_u32 s33, 0, s33                                     // 000000003B34: 82212180
	s_waitcnt vmcnt(14)                                        // 000000003B38: BF8C0F7E
	s_barrier                                                  // 000000003B3C: BF8A0000
	v_mfma_scale_f32_16x16x128_f8f6f4 v[128:131], a[64:67], v[192:195], v[128:131], v33, v23 op_sel_hi:[0,0,0] cbsz:4 blgp:4// 000000003B40: D3AC6000 00022F21 D3AD0C80 8E038140
	v_mfma_scale_f32_16x16x128_f8f6f4 v[160:163], a[64:67], v[200:203], v[160:163], v33, v23 op_sel_hi:[0,0,0] cbsz:4 blgp:4// 000000003B50: D3AC7000 00022F21 D3AD0CA0 8E839140
	buffer_load_dwordx4 a[0:3], v52, s[24:27], 0 offen         // 000000003B60: E05C1000 80860034
	buffer_load_dword v29, v15, s[32:35], 0 offen              // 000000003B68: E0501000 80081D0F
	buffer_load_dword v30, v16, s[32:35], 0 offen              // 000000003B70: E0501000 80081E10
	v_mfma_scale_f32_16x16x128_f8f6f4 v[132:135], a[68:71], v[192:195], v[132:135], v33, v23 op_sel_hi:[0,0,0] cbsz:4 blgp:4// 000000003B78: D3AC6800 00022F21 D3AD0C84 8E138144
	v_mfma_scale_f32_16x16x128_f8f6f4 v[164:167], a[68:71], v[200:203], v[164:167], v33, v23 op_sel_hi:[0,0,0] cbsz:4 blgp:4// 000000003B88: D3AC7800 00022F21 D3AD0CA4 8E939144
	buffer_load_dwordx4 a[4:7], v53, s[24:27], 0 offen         // 000000003B98: E05C1000 80860435
	buffer_load_dword v31, v17, s[32:35], 0 offen              // 000000003BA0: E0501000 80081F11
	buffer_load_dword v32, v18, s[32:35], 0 offen              // 000000003BA8: E0501000 80082012
	s_waitcnt vmcnt(18)                                        // 000000003BB0: BF8C4F72
	v_mfma_scale_f32_16x16x128_f8f6f4 v[136:139], a[72:75], v[192:195], v[136:139], v34, v23 op_sel_hi:[0,0,0] cbsz:4 blgp:4// 000000003BB4: D3AC6000 00022F22 D3AD0C88 8E238148
	v_mfma_scale_f32_16x16x128_f8f6f4 v[168:171], a[72:75], v[200:203], v[168:171], v34, v23 op_sel_hi:[0,0,0] cbsz:4 blgp:4// 000000003BC4: D3AC7000 00022F22 D3AD0CA8 8EA39148
	buffer_load_dwordx4 a[8:11], v54, s[24:27], 0 offen        // 000000003BD4: E05C1000 80860836
	v_mfma_scale_f32_16x16x128_f8f6f4 v[140:143], a[76:79], v[192:195], v[140:143], v34, v23 op_sel_hi:[0,0,0] cbsz:4 blgp:4// 000000003BDC: D3AC6800 00022F22 D3AD0C8C 8E33814C
	v_mfma_scale_f32_16x16x128_f8f6f4 v[172:175], a[76:79], v[200:203], v[172:175], v34, v23 op_sel_hi:[0,0,0] cbsz:4 blgp:4// 000000003BEC: D3AC7800 00022F22 D3AD0CAC 8EB3914C
	buffer_load_dwordx4 a[12:15], v55, s[24:27], 0 offen       // 000000003BFC: E05C1000 80860C37
	s_waitcnt vmcnt(18)                                        // 000000003C04: BF8C4F72
	v_mfma_scale_f32_16x16x128_f8f6f4 v[144:147], a[80:83], v[192:195], v[144:147], v35, v23 op_sel_hi:[0,0,0] cbsz:4 blgp:4// 000000003C08: D3AC6000 00022F23 D3AD0C90 8E438150
	v_mfma_scale_f32_16x16x128_f8f6f4 v[176:179], a[80:83], v[200:203], v[176:179], v35, v23 op_sel_hi:[0,0,0] cbsz:4 blgp:4// 000000003C18: D3AC7000 00022F23 D3AD0CB0 8EC39150
	buffer_load_dwordx4 a[16:19], v56, s[24:27], 0 offen       // 000000003C28: E05C1000 80861038
	v_mfma_scale_f32_16x16x128_f8f6f4 v[148:151], a[84:87], v[192:195], v[148:151], v35, v23 op_sel_hi:[0,0,0] cbsz:4 blgp:4// 000000003C30: D3AC6800 00022F23 D3AD0C94 8E538154
	v_mfma_scale_f32_16x16x128_f8f6f4 v[180:183], a[84:87], v[200:203], v[180:183], v35, v23 op_sel_hi:[0,0,0] cbsz:4 blgp:4// 000000003C40: D3AC7800 00022F23 D3AD0CB4 8ED39154
	buffer_load_dwordx4 a[20:23], v57, s[24:27], 0 offen       // 000000003C50: E05C1000 80861439
	s_waitcnt vmcnt(18)                                        // 000000003C58: BF8C4F72
	v_mfma_scale_f32_16x16x128_f8f6f4 v[152:155], a[88:91], v[192:195], v[152:155], v36, v23 op_sel_hi:[0,0,0] cbsz:4 blgp:4// 000000003C5C: D3AC6000 00022F24 D3AD0C98 8E638158
	v_mfma_scale_f32_16x16x128_f8f6f4 v[184:187], a[88:91], v[200:203], v[184:187], v36, v23 op_sel_hi:[0,0,0] cbsz:4 blgp:4// 000000003C6C: D3AC7000 00022F24 D3AD0CB8 8EE39158
	buffer_load_dwordx4 a[24:27], v58, s[24:27], 0 offen       // 000000003C7C: E05C1000 8086183A
	v_mfma_scale_f32_16x16x128_f8f6f4 v[156:159], a[92:95], v[192:195], v[156:159], v36, v23 op_sel_hi:[0,0,0] cbsz:4 blgp:4// 000000003C84: D3AC6800 00022F24 D3AD0C9C 8E73815C
	v_mfma_scale_f32_16x16x128_f8f6f4 v[188:191], a[92:95], v[200:203], v[188:191], v36, v23 op_sel_hi:[0,0,0] cbsz:4 blgp:4// 000000003C94: D3AC7800 00022F24 D3AD0CBC 8EF3915C
	buffer_load_dwordx4 a[28:31], v59, s[24:27], 0 offen       // 000000003CA4: E05C1000 80861C3B
	s_waitcnt vmcnt(18)                                        // 000000003CAC: BF8C4F72
	v_mfma_scale_f32_16x16x128_f8f6f4 v[128:131], a[96:99], v[196:199], v[128:131], v33, v23 op_sel_hi:[0,0,0] cbsz:4 blgp:4// 000000003CB0: D3AC6000 18022F21 D3AD0C80 8E038960
	ds_read_b128 v[208:211], v6 offset:4224                    // 000000003CC0: D9FE1080 D0000006
	ds_read_b128 v[212:215], v6 offset:4288                    // 000000003CC8: D9FE10C0 D4000006
	v_mfma_scale_f32_16x16x128_f8f6f4 v[160:163], a[96:99], v[204:207], v[160:163], v33, v23 op_sel_hi:[0,0,0] cbsz:4 blgp:4// 000000003CD0: D3AC7000 18022F21 D3AD0CA0 8E839960
	buffer_load_dwordx4 a[32:35], v52, s[24:27], 0 offen offset:1024// 000000003CE0: E05C1400 80862034
	v_mfma_scale_f32_16x16x128_f8f6f4 v[132:135], a[100:103], v[196:199], v[132:135], v33, v23 op_sel_hi:[0,0,0] cbsz:4 blgp:4// 000000003CE8: D3AC6800 18022F21 D3AD0C84 8E138964
	ds_read_b128 v[216:219], v6 offset:4736                    // 000000003CF8: D9FE1280 D8000006
	ds_read_b128 v[220:223], v6 offset:4800                    // 000000003D00: D9FE12C0 DC000006
	v_mfma_scale_f32_16x16x128_f8f6f4 v[164:167], a[100:103], v[204:207], v[164:167], v33, v23 op_sel_hi:[0,0,0] cbsz:4 blgp:4// 000000003D08: D3AC7800 18022F21 D3AD0CA4 8E939964
	buffer_load_dwordx4 a[36:39], v53, s[24:27], 0 offen offset:1024// 000000003D18: E05C1400 80862435
	s_waitcnt vmcnt(18)                                        // 000000003D20: BF8C4F72
	v_mfma_scale_f32_16x16x128_f8f6f4 v[136:139], a[104:107], v[196:199], v[136:139], v34, v23 op_sel_hi:[0,0,0] cbsz:4 blgp:4// 000000003D24: D3AC6000 18022F22 D3AD0C88 8E238968
	v_mfma_scale_f32_16x16x128_f8f6f4 v[168:171], a[104:107], v[204:207], v[168:171], v34, v23 op_sel_hi:[0,0,0] cbsz:4 blgp:4// 000000003D34: D3AC7000 18022F22 D3AD0CA8 8EA39968
	buffer_load_dwordx4 a[40:43], v54, s[24:27], 0 offen offset:1024// 000000003D44: E05C1400 80862836
	v_mfma_scale_f32_16x16x128_f8f6f4 v[140:143], a[108:111], v[196:199], v[140:143], v34, v23 op_sel_hi:[0,0,0] cbsz:4 blgp:4// 000000003D4C: D3AC6800 18022F22 D3AD0C8C 8E33896C
	v_mfma_scale_f32_16x16x128_f8f6f4 v[172:175], a[108:111], v[204:207], v[172:175], v34, v23 op_sel_hi:[0,0,0] cbsz:4 blgp:4// 000000003D5C: D3AC7800 18022F22 D3AD0CAC 8EB3996C
	buffer_load_dwordx4 a[44:47], v55, s[24:27], 0 offen offset:1024// 000000003D6C: E05C1400 80862C37
	s_waitcnt vmcnt(18)                                        // 000000003D74: BF8C4F72
	v_mfma_scale_f32_16x16x128_f8f6f4 v[144:147], a[112:115], v[196:199], v[144:147], v35, v23 op_sel_hi:[0,0,0] cbsz:4 blgp:4// 000000003D78: D3AC6000 18022F23 D3AD0C90 8E438970
	v_mfma_scale_f32_16x16x128_f8f6f4 v[176:179], a[112:115], v[204:207], v[176:179], v35, v23 op_sel_hi:[0,0,0] cbsz:4 blgp:4// 000000003D88: D3AC7000 18022F23 D3AD0CB0 8EC39970
	buffer_load_dwordx4 a[48:51], v56, s[24:27], 0 offen offset:1024// 000000003D98: E05C1400 80863038
	v_mfma_scale_f32_16x16x128_f8f6f4 v[148:151], a[116:119], v[196:199], v[148:151], v35, v23 op_sel_hi:[0,0,0] cbsz:4 blgp:4// 000000003DA0: D3AC6800 18022F23 D3AD0C94 8E538974
	v_mfma_scale_f32_16x16x128_f8f6f4 v[180:183], a[116:119], v[204:207], v[180:183], v35, v23 op_sel_hi:[0,0,0] cbsz:4 blgp:4// 000000003DB0: D3AC7800 18022F23 D3AD0CB4 8ED39974
	buffer_load_dwordx4 a[52:55], v57, s[24:27], 0 offen offset:1024// 000000003DC0: E05C1400 80863439
	s_waitcnt vmcnt(18)                                        // 000000003DC8: BF8C4F72
	v_mfma_scale_f32_16x16x128_f8f6f4 v[152:155], a[120:123], v[196:199], v[152:155], v36, v23 op_sel_hi:[0,0,0] cbsz:4 blgp:4// 000000003DCC: D3AC6000 18022F24 D3AD0C98 8E638978
	v_mfma_scale_f32_16x16x128_f8f6f4 v[184:187], a[120:123], v[204:207], v[184:187], v36, v23 op_sel_hi:[0,0,0] cbsz:4 blgp:4// 000000003DDC: D3AC7000 18022F24 D3AD0CB8 8EE39978
	buffer_load_dwordx4 a[56:59], v58, s[24:27], 0 offen offset:1024// 000000003DEC: E05C1400 8086383A
	v_mfma_scale_f32_16x16x128_f8f6f4 v[156:159], a[124:127], v[196:199], v[156:159], v36, v23 op_sel_hi:[0,0,0] cbsz:4 blgp:4// 000000003DF4: D3AC6800 18022F24 D3AD0C9C 8E73897C
	v_mfma_scale_f32_16x16x128_f8f6f4 v[188:191], a[124:127], v[204:207], v[188:191], v36, v23 op_sel_hi:[0,0,0] cbsz:4 blgp:4// 000000003E04: D3AC7800 18022F24 D3AD0CBC 8EF3997C
	buffer_load_dwordx4 a[60:63], v59, s[24:27], 0 offen offset:1024// 000000003E14: E05C1400 80863C3B
	s_add_u32 s60, 0x200, s80                                  // 000000003E1C: 803C50FF 00000200
	s_cmp_lt_u32 s60, s81                                      // 000000003E24: BF0A513C
	s_cselect_b32 s57, s57, 0                                  // 000000003E28: 85398039
	s_cselect_b32 s3, s3, 0                                    // 000000003E2C: 85038003
	s_add_u32 s60, 0x200, s80                                  // 000000003E30: 803C50FF 00000200
	s_cmp_lt_u32 s60, s81                                      // 000000003E38: BF0A513C
	s_cselect_b32 s58, s58, 0                                  // 000000003E3C: 853A803A
	s_add_u32 s20, s57, s20                                    // 000000003E40: 80141439
	s_addc_u32 s21, 0, s21                                     // 000000003E44: 82151580
	s_add_u32 s28, s3, s28                                     // 000000003E48: 801C1C03
	s_addc_u32 s29, 0, s29                                     // 000000003E4C: 821D1D80
	s_add_u32 s24, s58, s24                                    // 000000003E50: 8018183A
	s_addc_u32 s25, 0, s25                                     // 000000003E54: 82191980
	s_add_u32 s92, s90, s92                                    // 000000003E58: 805C5C5A
	s_addc_u32 s93, 0, s93                                     // 000000003E5C: 825D5D80
	s_addk_i32 s80, 0x100                                      // 000000003E60: B7500100
	s_cmp_lt_i32 s80, s81                                      // 000000003E64: BF045150
	s_cbranch_scc0 label_05A6                                  // 000000003E68: BF84018B
	s_waitcnt vmcnt(14) lgkmcnt(0)                             // 000000003E6C: BF8C007E
	s_barrier                                                  // 000000003E70: BF8A0000
	v_mfma_scale_f32_16x16x128_f8f6f4 v[64:67], a[0:3], v[208:211], v[64:67], v29, v24 op_sel_hi:[0,0,0] cbsz:4 blgp:4// 000000003E74: D3AC6000 0002311D D3AD0C40 8D03A100
	v_mfma_scale_f32_16x16x128_f8f6f4 v[96:99], a[0:3], v[216:219], v[96:99], v29, v24 op_sel_hi:[0,0,0] cbsz:4 blgp:4// 000000003E84: D3AC7000 0002311D D3AD0C60 8D83B100
	buffer_load_dwordx4 a[64:67], v52, s[92:95], 0 offen       // 000000003E94: E05C1000 80974034
	buffer_load_dwordx4 v51, s[20:23], 0 offen lds             // 000000003E9C: E05D1000 80050033
	s_add_u32 m0, 0, s51                                       // 000000003EA4: 807C3380
	v_mfma_scale_f32_16x16x128_f8f6f4 v[68:71], a[4:7], v[208:211], v[68:71], v29, v24 op_sel_hi:[0,0,0] cbsz:4 blgp:4// 000000003EA8: D3AC6800 0002311D D3AD0C44 8D13A104
	v_mfma_scale_f32_16x16x128_f8f6f4 v[100:103], a[4:7], v[216:219], v[100:103], v29, v24 op_sel_hi:[0,0,0] cbsz:4 blgp:4// 000000003EB8: D3AC7800 0002311D D3AD0C64 8D93B104
	buffer_load_dwordx4 a[68:71], v53, s[92:95], 0 offen       // 000000003EC8: E05C1000 80974435
	buffer_load_dword v23, v12, s[28:31], 0 offen              // 000000003ED0: E0501000 8007170C
	buffer_load_dword v37, v19, s[32:35], 0 offen              // 000000003ED8: E0501000 80082513
	buffer_load_dword v38, v20, s[32:35], 0 offen              // 000000003EE0: E0501000 80082614
	buffer_load_dword v39, v21, s[32:35], 0 offen              // 000000003EE8: E0501000 80082715
	buffer_load_dword v40, v22, s[32:35], 0 offen              // 000000003EF0: E0501000 80082816
	s_waitcnt vmcnt(20)                                        // 000000003EF8: BF8C4F74
	v_mfma_scale_f32_16x16x128_f8f6f4 v[72:75], a[8:11], v[208:211], v[72:75], v30, v24 op_sel_hi:[0,0,0] cbsz:4 blgp:4// 000000003EFC: D3AC6000 0002311E D3AD0C48 8D23A108
	v_mfma_scale_f32_16x16x128_f8f6f4 v[104:107], a[8:11], v[216:219], v[104:107], v30, v24 op_sel_hi:[0,0,0] cbsz:4 blgp:4// 000000003F0C: D3AC7000 0002311E D3AD0C68 8DA3B108
	buffer_load_dwordx4 a[72:75], v54, s[92:95], 0 offen       // 000000003F1C: E05C1000 80974836
	v_mfma_scale_f32_16x16x128_f8f6f4 v[76:79], a[12:15], v[208:211], v[76:79], v30, v24 op_sel_hi:[0,0,0] cbsz:4 blgp:4// 000000003F24: D3AC6800 0002311E D3AD0C4C 8D33A10C
	v_mfma_scale_f32_16x16x128_f8f6f4 v[108:111], a[12:15], v[216:219], v[108:111], v30, v24 op_sel_hi:[0,0,0] cbsz:4 blgp:4// 000000003F34: D3AC7800 0002311E D3AD0C6C 8DB3B10C
	buffer_load_dwordx4 a[76:79], v55, s[92:95], 0 offen       // 000000003F44: E05C1000 80974C37
	s_waitcnt vmcnt(20)                                        // 000000003F4C: BF8C4F74
	v_mfma_scale_f32_16x16x128_f8f6f4 v[80:83], a[16:19], v[208:211], v[80:83], v31, v24 op_sel_hi:[0,0,0] cbsz:4 blgp:4// 000000003F50: D3AC6000 0002311F D3AD0C50 8D43A110
	v_mfma_scale_f32_16x16x128_f8f6f4 v[112:115], a[16:19], v[216:219], v[112:115], v31, v24 op_sel_hi:[0,0,0] cbsz:4 blgp:4// 000000003F60: D3AC7000 0002311F D3AD0C70 8DC3B110
	buffer_load_dwordx4 a[80:83], v56, s[92:95], 0 offen       // 000000003F70: E05C1000 80975038
	v_mfma_scale_f32_16x16x128_f8f6f4 v[84:87], a[20:23], v[208:211], v[84:87], v31, v24 op_sel_hi:[0,0,0] cbsz:4 blgp:4// 000000003F78: D3AC6800 0002311F D3AD0C54 8D53A114
	v_mfma_scale_f32_16x16x128_f8f6f4 v[116:119], a[20:23], v[216:219], v[116:119], v31, v24 op_sel_hi:[0,0,0] cbsz:4 blgp:4// 000000003F88: D3AC7800 0002311F D3AD0C74 8DD3B114
	buffer_load_dwordx4 a[84:87], v57, s[92:95], 0 offen       // 000000003F98: E05C1000 80975439
	s_waitcnt vmcnt(20)                                        // 000000003FA0: BF8C4F74
	v_mfma_scale_f32_16x16x128_f8f6f4 v[88:91], a[24:27], v[208:211], v[88:91], v32, v24 op_sel_hi:[0,0,0] cbsz:4 blgp:4// 000000003FA4: D3AC6000 00023120 D3AD0C58 8D63A118
	v_mfma_scale_f32_16x16x128_f8f6f4 v[120:123], a[24:27], v[216:219], v[120:123], v32, v24 op_sel_hi:[0,0,0] cbsz:4 blgp:4// 000000003FB4: D3AC7000 00023120 D3AD0C78 8DE3B118
	buffer_load_dwordx4 a[88:91], v58, s[92:95], 0 offen       // 000000003FC4: E05C1000 8097583A
	v_mfma_scale_f32_16x16x128_f8f6f4 v[92:95], a[28:31], v[208:211], v[92:95], v32, v24 op_sel_hi:[0,0,0] cbsz:4 blgp:4// 000000003FCC: D3AC6800 00023120 D3AD0C5C 8D73A11C
	v_mfma_scale_f32_16x16x128_f8f6f4 v[124:127], a[28:31], v[216:219], v[124:127], v32, v24 op_sel_hi:[0,0,0] cbsz:4 blgp:4// 000000003FDC: D3AC7800 00023120 D3AD0C7C 8DF3B11C
	buffer_load_dwordx4 a[92:95], v59, s[92:95], 0 offen       // 000000003FEC: E05C1000 80975C3B
	s_nop 0                                                    // 000000003FF4: BF800000
	s_waitcnt vmcnt(20)                                        // 000000003FF8: BF8C4F74
	v_mfma_scale_f32_16x16x128_f8f6f4 v[64:67], a[32:35], v[212:215], v[64:67], v29, v24 op_sel_hi:[0,0,0] cbsz:4 blgp:4// 000000003FFC: D3AC4000 1802311D D3AD0C40 8D03A920
	v_mfma_scale_f32_16x16x128_f8f6f4 v[96:99], a[32:35], v[220:223], v[96:99], v29, v24 op_sel_hi:[0,0,0] cbsz:4 blgp:4// 00000000400C: D3AC3000 1802311D D3AD0C60 8D83B920
	buffer_load_dwordx4 a[96:99], v52, s[92:95], 0 offen offset:1024// 00000000401C: E05C1400 80976034
	v_mfma_scale_f32_16x16x128_f8f6f4 v[68:71], a[36:39], v[212:215], v[68:71], v29, v24 op_sel_hi:[0,0,0] cbsz:4 blgp:4// 000000004024: D3AC6800 1802311D D3AD0C44 8D13A924
	v_mfma_scale_f32_16x16x128_f8f6f4 v[100:103], a[36:39], v[220:223], v[100:103], v29, v24 op_sel_hi:[0,0,0] cbsz:4 blgp:4// 000000004034: D3AC7800 1802311D D3AD0C64 8D93B924
	buffer_load_dwordx4 a[100:103], v53, s[92:95], 0 offen offset:1024// 000000004044: E05C1400 80976435
	s_waitcnt vmcnt(20)                                        // 00000000404C: BF8C4F74
	v_mfma_scale_f32_16x16x128_f8f6f4 v[72:75], a[40:43], v[212:215], v[72:75], v30, v24 op_sel_hi:[0,0,0] cbsz:4 blgp:4// 000000004050: D3AC6000 1802311E D3AD0C48 8D23A928
	v_mfma_scale_f32_16x16x128_f8f6f4 v[104:107], a[40:43], v[220:223], v[104:107], v30, v24 op_sel_hi:[0,0,0] cbsz:4 blgp:4// 000000004060: D3AC7000 1802311E D3AD0C68 8DA3B928
	buffer_load_dwordx4 a[104:107], v54, s[92:95], 0 offen offset:1024// 000000004070: E05C1400 80976836
	v_mfma_scale_f32_16x16x128_f8f6f4 v[76:79], a[44:47], v[212:215], v[76:79], v30, v24 op_sel_hi:[0,0,0] cbsz:4 blgp:4// 000000004078: D3AC6800 1802311E D3AD0C4C 8D33A92C
	v_mfma_scale_f32_16x16x128_f8f6f4 v[108:111], a[44:47], v[220:223], v[108:111], v30, v24 op_sel_hi:[0,0,0] cbsz:4 blgp:4// 000000004088: D3AC7800 1802311E D3AD0C6C 8DB3B92C
	buffer_load_dwordx4 a[108:111], v55, s[92:95], 0 offen offset:1024// 000000004098: E05C1400 80976C37
	s_waitcnt vmcnt(20)                                        // 0000000040A0: BF8C4F74
	v_mfma_scale_f32_16x16x128_f8f6f4 v[80:83], a[48:51], v[212:215], v[80:83], v31, v24 op_sel_hi:[0,0,0] cbsz:4 blgp:4// 0000000040A4: D3AC6000 1802311F D3AD0C50 8D43A930
	v_mfma_scale_f32_16x16x128_f8f6f4 v[112:115], a[48:51], v[220:223], v[112:115], v31, v24 op_sel_hi:[0,0,0] cbsz:4 blgp:4// 0000000040B4: D3AC7000 1802311F D3AD0C70 8DC3B930
	buffer_load_dwordx4 a[112:115], v56, s[92:95], 0 offen offset:1024// 0000000040C4: E05C1400 80977038
	v_mfma_scale_f32_16x16x128_f8f6f4 v[84:87], a[52:55], v[212:215], v[84:87], v31, v24 op_sel_hi:[0,0,0] cbsz:4 blgp:4// 0000000040CC: D3AC6800 1802311F D3AD0C54 8D53A934
	v_mfma_scale_f32_16x16x128_f8f6f4 v[116:119], a[52:55], v[220:223], v[116:119], v31, v24 op_sel_hi:[0,0,0] cbsz:4 blgp:4// 0000000040DC: D3AC7800 1802311F D3AD0C74 8DD3B934
	buffer_load_dwordx4 a[116:119], v57, s[92:95], 0 offen offset:1024// 0000000040EC: E05C1400 80977439
	s_waitcnt vmcnt(20)                                        // 0000000040F4: BF8C4F74
	v_mfma_scale_f32_16x16x128_f8f6f4 v[88:91], a[56:59], v[212:215], v[88:91], v32, v24 op_sel_hi:[0,0,0] cbsz:4 blgp:4// 0000000040F8: D3AC6000 18023120 D3AD0C58 8D63A938
	v_mfma_scale_f32_16x16x128_f8f6f4 v[120:123], a[56:59], v[220:223], v[120:123], v32, v24 op_sel_hi:[0,0,0] cbsz:4 blgp:4// 000000004108: D3AC7000 18023120 D3AD0C78 8DE3B938
	buffer_load_dwordx4 a[120:123], v58, s[92:95], 0 offen offset:1024// 000000004118: E05C1400 8097783A
	v_mfma_scale_f32_16x16x128_f8f6f4 v[92:95], a[60:63], v[212:215], v[92:95], v32, v24 op_sel_hi:[0,0,0] cbsz:4 blgp:4// 000000004120: D3AC6800 18023120 D3AD0C5C 8D73A93C
	v_mfma_scale_f32_16x16x128_f8f6f4 v[124:127], a[60:63], v[220:223], v[124:127], v32, v24 op_sel_hi:[0,0,0] cbsz:4 blgp:4// 000000004130: D3AC5800 18023120 D3AD0C7C 8DF3B93C
	buffer_load_dwordx4 a[124:127], v59, s[92:95], 0 offen offset:1024// 000000004140: E05C1400 80977C3B
	s_add_u32 s60, 0x100, s80                                  // 000000004148: 803C50FF 00000100
	s_cmp_lt_u32 s60, s81                                      // 000000004150: BF0A513C
	s_cselect_b32 s4, s4, 0                                    // 000000004154: 85048004
	s_add_u32 s32, s4, s32                                     // 000000004158: 80202004
	s_addc_u32 s33, 0, s33                                     // 00000000415C: 82212180
	s_waitcnt vmcnt(14)                                        // 000000004160: BF8C0F7E
	s_barrier                                                  // 000000004164: BF8A0000
	v_mfma_scale_f32_16x16x128_f8f6f4 v[128:131], a[64:67], v[208:211], v[128:131], v37, v24 op_sel_hi:[0,0,0] cbsz:4 blgp:4// 000000004168: D3AC6000 00023125 D3AD0C80 8E03A140
	v_mfma_scale_f32_16x16x128_f8f6f4 v[160:163], a[64:67], v[216:219], v[160:163], v37, v24 op_sel_hi:[0,0,0] cbsz:4 blgp:4// 000000004178: D3AC7000 00023125 D3AD0CA0 8E83B140
	buffer_load_dwordx4 a[0:3], v52, s[24:27], 0 offen         // 000000004188: E05C1000 80860034
	buffer_load_dword v25, v15, s[32:35], 0 offen              // 000000004190: E0501000 8008190F
	buffer_load_dword v26, v16, s[32:35], 0 offen              // 000000004198: E0501000 80081A10
	v_mfma_scale_f32_16x16x128_f8f6f4 v[132:135], a[68:71], v[208:211], v[132:135], v37, v24 op_sel_hi:[0,0,0] cbsz:4 blgp:4// 0000000041A0: D3AC6800 00023125 D3AD0C84 8E13A144
	v_mfma_scale_f32_16x16x128_f8f6f4 v[164:167], a[68:71], v[216:219], v[164:167], v37, v24 op_sel_hi:[0,0,0] cbsz:4 blgp:4// 0000000041B0: D3AC7800 00023125 D3AD0CA4 8E93B144
	buffer_load_dwordx4 a[4:7], v53, s[24:27], 0 offen         // 0000000041C0: E05C1000 80860435
	buffer_load_dword v27, v17, s[32:35], 0 offen              // 0000000041C8: E0501000 80081B11
	buffer_load_dword v28, v18, s[32:35], 0 offen              // 0000000041D0: E0501000 80081C12
	s_waitcnt vmcnt(18)                                        // 0000000041D8: BF8C4F72
	v_mfma_scale_f32_16x16x128_f8f6f4 v[136:139], a[72:75], v[208:211], v[136:139], v38, v24 op_sel_hi:[0,0,0] cbsz:4 blgp:4// 0000000041DC: D3AC6000 00023126 D3AD0C88 8E23A148
	v_mfma_scale_f32_16x16x128_f8f6f4 v[168:171], a[72:75], v[216:219], v[168:171], v38, v24 op_sel_hi:[0,0,0] cbsz:4 blgp:4// 0000000041EC: D3AC7000 00023126 D3AD0CA8 8EA3B148
	buffer_load_dwordx4 a[8:11], v54, s[24:27], 0 offen        // 0000000041FC: E05C1000 80860836
	v_mfma_scale_f32_16x16x128_f8f6f4 v[140:143], a[76:79], v[208:211], v[140:143], v38, v24 op_sel_hi:[0,0,0] cbsz:4 blgp:4// 000000004204: D3AC6800 00023126 D3AD0C8C 8E33A14C
	v_mfma_scale_f32_16x16x128_f8f6f4 v[172:175], a[76:79], v[216:219], v[172:175], v38, v24 op_sel_hi:[0,0,0] cbsz:4 blgp:4// 000000004214: D3AC7800 00023126 D3AD0CAC 8EB3B14C
	buffer_load_dwordx4 a[12:15], v55, s[24:27], 0 offen       // 000000004224: E05C1000 80860C37
	s_waitcnt vmcnt(18)                                        // 00000000422C: BF8C4F72
	v_mfma_scale_f32_16x16x128_f8f6f4 v[144:147], a[80:83], v[208:211], v[144:147], v39, v24 op_sel_hi:[0,0,0] cbsz:4 blgp:4// 000000004230: D3AC6000 00023127 D3AD0C90 8E43A150
	v_mfma_scale_f32_16x16x128_f8f6f4 v[176:179], a[80:83], v[216:219], v[176:179], v39, v24 op_sel_hi:[0,0,0] cbsz:4 blgp:4// 000000004240: D3AC7000 00023127 D3AD0CB0 8EC3B150
	buffer_load_dwordx4 a[16:19], v56, s[24:27], 0 offen       // 000000004250: E05C1000 80861038
	v_mfma_scale_f32_16x16x128_f8f6f4 v[148:151], a[84:87], v[208:211], v[148:151], v39, v24 op_sel_hi:[0,0,0] cbsz:4 blgp:4// 000000004258: D3AC6800 00023127 D3AD0C94 8E53A154
	v_mfma_scale_f32_16x16x128_f8f6f4 v[180:183], a[84:87], v[216:219], v[180:183], v39, v24 op_sel_hi:[0,0,0] cbsz:4 blgp:4// 000000004268: D3AC7800 00023127 D3AD0CB4 8ED3B154
	buffer_load_dwordx4 a[20:23], v57, s[24:27], 0 offen       // 000000004278: E05C1000 80861439
	s_waitcnt vmcnt(18)                                        // 000000004280: BF8C4F72
	v_mfma_scale_f32_16x16x128_f8f6f4 v[152:155], a[88:91], v[208:211], v[152:155], v40, v24 op_sel_hi:[0,0,0] cbsz:4 blgp:4// 000000004284: D3AC6000 00023128 D3AD0C98 8E63A158
	v_mfma_scale_f32_16x16x128_f8f6f4 v[184:187], a[88:91], v[216:219], v[184:187], v40, v24 op_sel_hi:[0,0,0] cbsz:4 blgp:4// 000000004294: D3AC7000 00023128 D3AD0CB8 8EE3B158
	buffer_load_dwordx4 a[24:27], v58, s[24:27], 0 offen       // 0000000042A4: E05C1000 8086183A
	v_mfma_scale_f32_16x16x128_f8f6f4 v[156:159], a[92:95], v[208:211], v[156:159], v40, v24 op_sel_hi:[0,0,0] cbsz:4 blgp:4// 0000000042AC: D3AC6800 00023128 D3AD0C9C 8E73A15C
	v_mfma_scale_f32_16x16x128_f8f6f4 v[188:191], a[92:95], v[216:219], v[188:191], v40, v24 op_sel_hi:[0,0,0] cbsz:4 blgp:4// 0000000042BC: D3AC7800 00023128 D3AD0CBC 8EF3B15C
	buffer_load_dwordx4 a[28:31], v59, s[24:27], 0 offen       // 0000000042CC: E05C1000 80861C3B
	s_waitcnt vmcnt(18)                                        // 0000000042D4: BF8C4F72
	v_mfma_scale_f32_16x16x128_f8f6f4 v[128:131], a[96:99], v[212:215], v[128:131], v37, v24 op_sel_hi:[0,0,0] cbsz:4 blgp:4// 0000000042D8: D3AC6000 18023125 D3AD0C80 8E03A960
	ds_read_b128 v[192:195], v6                                // 0000000042E8: D9FE0000 C0000006
	ds_read_b128 v[196:199], v6 offset:64                      // 0000000042F0: D9FE0040 C4000006
	v_mfma_scale_f32_16x16x128_f8f6f4 v[160:163], a[96:99], v[220:223], v[160:163], v37, v24 op_sel_hi:[0,0,0] cbsz:4 blgp:4// 0000000042F8: D3AC7000 18023125 D3AD0CA0 8E83B960
	buffer_load_dwordx4 a[32:35], v52, s[24:27], 0 offen offset:1024// 000000004308: E05C1400 80862034
	v_mfma_scale_f32_16x16x128_f8f6f4 v[132:135], a[100:103], v[212:215], v[132:135], v37, v24 op_sel_hi:[0,0,0] cbsz:4 blgp:4// 000000004310: D3AC6800 18023125 D3AD0C84 8E13A964
	ds_read_b128 v[200:203], v6 offset:512                     // 000000004320: D9FE0200 C8000006
	ds_read_b128 v[204:207], v6 offset:576                     // 000000004328: D9FE0240 CC000006
	v_mfma_scale_f32_16x16x128_f8f6f4 v[164:167], a[100:103], v[220:223], v[164:167], v37, v24 op_sel_hi:[0,0,0] cbsz:4 blgp:4// 000000004330: D3AC7800 18023125 D3AD0CA4 8E93B964
	buffer_load_dwordx4 a[36:39], v53, s[24:27], 0 offen offset:1024// 000000004340: E05C1400 80862435
	s_waitcnt vmcnt(18)                                        // 000000004348: BF8C4F72
	v_mfma_scale_f32_16x16x128_f8f6f4 v[136:139], a[104:107], v[212:215], v[136:139], v38, v24 op_sel_hi:[0,0,0] cbsz:4 blgp:4// 00000000434C: D3AC6000 18023126 D3AD0C88 8E23A968
	v_mfma_scale_f32_16x16x128_f8f6f4 v[168:171], a[104:107], v[220:223], v[168:171], v38, v24 op_sel_hi:[0,0,0] cbsz:4 blgp:4// 00000000435C: D3AC7000 18023126 D3AD0CA8 8EA3B968
	buffer_load_dwordx4 a[40:43], v54, s[24:27], 0 offen offset:1024// 00000000436C: E05C1400 80862836
	v_mfma_scale_f32_16x16x128_f8f6f4 v[140:143], a[108:111], v[212:215], v[140:143], v38, v24 op_sel_hi:[0,0,0] cbsz:4 blgp:4// 000000004374: D3AC6800 18023126 D3AD0C8C 8E33A96C
	v_mfma_scale_f32_16x16x128_f8f6f4 v[172:175], a[108:111], v[220:223], v[172:175], v38, v24 op_sel_hi:[0,0,0] cbsz:4 blgp:4// 000000004384: D3AC7800 18023126 D3AD0CAC 8EB3B96C
	buffer_load_dwordx4 a[44:47], v55, s[24:27], 0 offen offset:1024// 000000004394: E05C1400 80862C37
	s_waitcnt vmcnt(18)                                        // 00000000439C: BF8C4F72
	v_mfma_scale_f32_16x16x128_f8f6f4 v[144:147], a[112:115], v[212:215], v[144:147], v39, v24 op_sel_hi:[0,0,0] cbsz:4 blgp:4// 0000000043A0: D3AC6000 18023127 D3AD0C90 8E43A970
	v_mfma_scale_f32_16x16x128_f8f6f4 v[176:179], a[112:115], v[220:223], v[176:179], v39, v24 op_sel_hi:[0,0,0] cbsz:4 blgp:4// 0000000043B0: D3AC7000 18023127 D3AD0CB0 8EC3B970
	buffer_load_dwordx4 a[48:51], v56, s[24:27], 0 offen offset:1024// 0000000043C0: E05C1400 80863038
	v_mfma_scale_f32_16x16x128_f8f6f4 v[148:151], a[116:119], v[212:215], v[148:151], v39, v24 op_sel_hi:[0,0,0] cbsz:4 blgp:4// 0000000043C8: D3AC6800 18023127 D3AD0C94 8E53A974
	v_mfma_scale_f32_16x16x128_f8f6f4 v[180:183], a[116:119], v[220:223], v[180:183], v39, v24 op_sel_hi:[0,0,0] cbsz:4 blgp:4// 0000000043D8: D3AC7800 18023127 D3AD0CB4 8ED3B974
	buffer_load_dwordx4 a[52:55], v57, s[24:27], 0 offen offset:1024// 0000000043E8: E05C1400 80863439
	s_waitcnt vmcnt(18)                                        // 0000000043F0: BF8C4F72
	v_mfma_scale_f32_16x16x128_f8f6f4 v[152:155], a[120:123], v[212:215], v[152:155], v40, v24 op_sel_hi:[0,0,0] cbsz:4 blgp:4// 0000000043F4: D3AC6000 18023128 D3AD0C98 8E63A978
	v_mfma_scale_f32_16x16x128_f8f6f4 v[184:187], a[120:123], v[220:223], v[184:187], v40, v24 op_sel_hi:[0,0,0] cbsz:4 blgp:4// 000000004404: D3AC7000 18023128 D3AD0CB8 8EE3B978
	buffer_load_dwordx4 a[56:59], v58, s[24:27], 0 offen offset:1024// 000000004414: E05C1400 8086383A
	v_mfma_scale_f32_16x16x128_f8f6f4 v[156:159], a[124:127], v[212:215], v[156:159], v40, v24 op_sel_hi:[0,0,0] cbsz:4 blgp:4// 00000000441C: D3AC6800 18023128 D3AD0C9C 8E73A97C
	v_mfma_scale_f32_16x16x128_f8f6f4 v[188:191], a[124:127], v[220:223], v[188:191], v40, v24 op_sel_hi:[0,0,0] cbsz:4 blgp:4// 00000000442C: D3AC7800 18023128 D3AD0CBC 8EF3B97C
	buffer_load_dwordx4 a[60:63], v59, s[24:27], 0 offen offset:1024// 00000000443C: E05C1400 80863C3B
	s_add_u32 s60, 0x200, s80                                  // 000000004444: 803C50FF 00000200
	s_cmp_lt_u32 s60, s81                                      // 00000000444C: BF0A513C
	s_cselect_b32 s57, s57, 0                                  // 000000004450: 85398039
	s_cselect_b32 s3, s3, 0                                    // 000000004454: 85038003
	s_add_u32 s60, 0x200, s80                                  // 000000004458: 803C50FF 00000200
	s_cmp_lt_u32 s60, s81                                      // 000000004460: BF0A513C
	s_cselect_b32 s58, s58, 0                                  // 000000004464: 853A803A
	s_add_u32 s20, s57, s20                                    // 000000004468: 80141439
	s_addc_u32 s21, 0, s21                                     // 00000000446C: 82151580
	s_add_u32 s28, s3, s28                                     // 000000004470: 801C1C03
	s_addc_u32 s29, 0, s29                                     // 000000004474: 821D1D80
	s_add_u32 s24, s58, s24                                    // 000000004478: 8018183A
	s_addc_u32 s25, 0, s25                                     // 00000000447C: 82191980
	s_add_u32 s92, s90, s92                                    // 000000004480: 805C5C5A
	s_addc_u32 s93, 0, s93                                     // 000000004484: 825D5D80
	s_addk_i32 s80, 0x100                                      // 000000004488: B7500100
	s_cmp_lt_i32 s80, s81                                      // 00000000448C: BF045150
	s_cbranch_scc0 label_05A6                                  // 000000004490: BF840001
	s_branch label_0291                                        // 000000004494: BF82FCEB

0000000000004498 <label_05A6>:
	s_mov_b32 s20, 0                                           // 000000004498: BE940080
	s_cmp_lt_u32 s89, s66                                      // 00000000449C: BF0A4259
	s_cselect_b32 s60, 0, 1                                    // 0000000044A0: 853C8180
	s_lshl1_add_u32 s20, s20, s60                              // 0000000044A4: 97143C14
	s_cmp_lt_u32 s88, s66                                      // 0000000044A8: BF0A4258
	s_cselect_b32 s60, 0, 1                                    // 0000000044AC: 853C8180
	s_lshl1_add_u32 s20, s20, s60                              // 0000000044B0: 97143C14
	s_cmp_lt_u32 s87, s66                                      // 0000000044B4: BF0A4257
	s_cselect_b32 s60, 0, 1                                    // 0000000044B8: 853C8180
	s_lshl1_add_u32 s20, s20, s60                              // 0000000044BC: 97143C14
	s_cmp_lt_u32 s86, s66                                      // 0000000044C0: BF0A4256
	s_cselect_b32 s60, 0, 1                                    // 0000000044C4: 853C8180
	s_lshl1_add_u32 s20, s20, s60                              // 0000000044C8: 97143C14
	s_cmp_lt_u32 s85, s66                                      // 0000000044CC: BF0A4255
	s_cselect_b32 s60, 0, 1                                    // 0000000044D0: 853C8180
	s_lshl1_add_u32 s20, s20, s60                              // 0000000044D4: 97143C14
	s_cmp_lt_u32 s84, s66                                      // 0000000044D8: BF0A4254
	s_cselect_b32 s60, 0, 1                                    // 0000000044DC: 853C8180
	s_lshl1_add_u32 s20, s20, s60                              // 0000000044E0: 97143C14
	s_cmp_lt_u32 s83, s66                                      // 0000000044E4: BF0A4253
	s_cselect_b32 s60, 0, 1                                    // 0000000044E8: 853C8180
	s_lshl1_add_u32 s20, s20, s60                              // 0000000044EC: 97143C14
	s_cmp_lt_u32 s82, s66                                      // 0000000044F0: BF0A4252
	s_cselect_b32 s60, 0, 1                                    // 0000000044F4: 853C8180
	s_lshl1_add_u32 s20, s20, s60                              // 0000000044F8: 97143C14
	v_mov_b32_e32 v1, 0xbfcc4231                               // 0000000044FC: 7E0202FF BFCC4231
	s_waitcnt vmcnt(14)                                        // 000000004504: BF8C0F7E
	buffer_load_dwordx4 a[0:3], v60, s[12:15], 0 offen         // 000000004508: E05C1000 8083003C
	v_mul_f32_e32 v2, v64, v64                                 // 000000004510: 0A048140
	v_mul_f32_e32 v3, v65, v65                                 // 000000004514: 0A068341
	v_mul_f32_e32 v4, v66, v66                                 // 000000004518: 0A088542
	v_mul_f32_e32 v5, v67, v67                                 // 00000000451C: 0A0A8743
	v_fma_f32 v2, v2, s77, v1                                  // 000000004520: D1CB0002 04049B02
	v_fma_f32 v3, v3, s77, v1                                  // 000000004528: D1CB0003 04049B03
	v_fma_f32 v4, v4, s77, v1                                  // 000000004530: D1CB0004 04049B04
	v_fma_f32 v5, v5, s77, v1                                  // 000000004538: D1CB0005 04049B05
	v_mul_f32_e32 v2, v2, v64                                  // 000000004540: 0A048102
	v_mul_f32_e32 v3, v3, v65                                  // 000000004544: 0A068303
	v_mul_f32_e32 v4, v4, v66                                  // 000000004548: 0A088504
	v_mul_f32_e32 v5, v5, v67                                  // 00000000454C: 0A0A8705
	v_mul_f32_e64 v2, v2, s6                                   // 000000004550: D1050002 00000D02
	v_mul_f32_e64 v3, v3, s6                                   // 000000004558: D1050003 00000D03
	v_mul_f32_e64 v4, v4, s6                                   // 000000004560: D1050004 00000D04
	v_mul_f32_e64 v5, v5, s6                                   // 000000004568: D1050005 00000D05
	v_exp_f32_e32 v2, v2                                       // 000000004570: 7E044102
	v_exp_f32_e32 v3, v3                                       // 000000004574: 7E064103
	v_exp_f32_e32 v4, v4                                       // 000000004578: 7E084104
	v_exp_f32_e32 v5, v5                                       // 00000000457C: 7E0A4105
	buffer_load_dwordx4 a[4:7], v61, s[12:15], 0 offen         // 000000004580: E05C1000 8083043D
	v_add_f32_e64 v2, v2, 1.0                                  // 000000004588: D1010002 0001E502
	v_add_f32_e64 v3, v3, 1.0                                  // 000000004590: D1010003 0001E503
	v_add_f32_e64 v4, v4, 1.0                                  // 000000004598: D1010004 0001E504
	v_add_f32_e64 v5, v5, 1.0                                  // 0000000045A0: D1010005 0001E505
	v_rcp_f32_e32 v2, v2                                       // 0000000045A8: 7E044502
	v_rcp_f32_e32 v3, v3                                       // 0000000045AC: 7E064503
	v_rcp_f32_e32 v4, v4                                       // 0000000045B0: 7E084504
	v_rcp_f32_e32 v5, v5                                       // 0000000045B4: 7E0A4505
	v_mul_f32_e32 v64, v64, v2                                 // 0000000045B8: 0A800540
	v_mul_f32_e32 v65, v65, v3                                 // 0000000045BC: 0A820741
	v_mul_f32_e32 v66, v66, v4                                 // 0000000045C0: 0A840942
	v_mul_f32_e32 v67, v67, v5                                 // 0000000045C4: 0A860B43
	v_mul_f32_e32 v64, v64, v128                               // 0000000045C8: 0A810140
	v_mul_f32_e32 v65, v65, v129                               // 0000000045CC: 0A830341
	v_mul_f32_e32 v66, v66, v130                               // 0000000045D0: 0A850542
	v_mul_f32_e32 v67, v67, v131                               // 0000000045D4: 0A870743
	s_waitcnt vmcnt(14)                                        // 0000000045D8: BF8C0F7E
	buffer_load_dwordx4 a[8:11], v62, s[12:15], 0 offen        // 0000000045DC: E05C1000 8083083E
	v_mul_f32_e32 v2, v68, v68                                 // 0000000045E4: 0A048944
	v_mul_f32_e32 v3, v69, v69                                 // 0000000045E8: 0A068B45
	v_mul_f32_e32 v4, v70, v70                                 // 0000000045EC: 0A088D46
	v_mul_f32_e32 v5, v71, v71                                 // 0000000045F0: 0A0A8F47
	v_fma_f32 v2, v2, s77, v1                                  // 0000000045F4: D1CB0002 04049B02
	v_fma_f32 v3, v3, s77, v1                                  // 0000000045FC: D1CB0003 04049B03
	v_fma_f32 v4, v4, s77, v1                                  // 000000004604: D1CB0004 04049B04
	v_fma_f32 v5, v5, s77, v1                                  // 00000000460C: D1CB0005 04049B05
	v_mul_f32_e32 v2, v2, v68                                  // 000000004614: 0A048902
	v_mul_f32_e32 v3, v3, v69                                  // 000000004618: 0A068B03
	v_mul_f32_e32 v4, v4, v70                                  // 00000000461C: 0A088D04
	v_mul_f32_e32 v5, v5, v71                                  // 000000004620: 0A0A8F05
	v_mul_f32_e64 v2, v2, s6                                   // 000000004624: D1050002 00000D02
	v_mul_f32_e64 v3, v3, s6                                   // 00000000462C: D1050003 00000D03
	v_mul_f32_e64 v4, v4, s6                                   // 000000004634: D1050004 00000D04
	v_mul_f32_e64 v5, v5, s6                                   // 00000000463C: D1050005 00000D05
	v_exp_f32_e32 v2, v2                                       // 000000004644: 7E044102
	v_exp_f32_e32 v3, v3                                       // 000000004648: 7E064103
	v_exp_f32_e32 v4, v4                                       // 00000000464C: 7E084104
	v_exp_f32_e32 v5, v5                                       // 000000004650: 7E0A4105
	buffer_load_dwordx4 a[12:15], v63, s[12:15], 0 offen       // 000000004654: E05C1000 80830C3F
	v_add_f32_e64 v2, v2, 1.0                                  // 00000000465C: D1010002 0001E502
	v_add_f32_e64 v3, v3, 1.0                                  // 000000004664: D1010003 0001E503
	v_add_f32_e64 v4, v4, 1.0                                  // 00000000466C: D1010004 0001E504
	v_add_f32_e64 v5, v5, 1.0                                  // 000000004674: D1010005 0001E505
	v_rcp_f32_e32 v2, v2                                       // 00000000467C: 7E044502
	v_rcp_f32_e32 v3, v3                                       // 000000004680: 7E064503
	v_rcp_f32_e32 v4, v4                                       // 000000004684: 7E084504
	v_rcp_f32_e32 v5, v5                                       // 000000004688: 7E0A4505
	v_mul_f32_e32 v68, v68, v2                                 // 00000000468C: 0A880544
	v_mul_f32_e32 v69, v69, v3                                 // 000000004690: 0A8A0745
	v_mul_f32_e32 v70, v70, v4                                 // 000000004694: 0A8C0946
	v_mul_f32_e32 v71, v71, v5                                 // 000000004698: 0A8E0B47
	v_mul_f32_e32 v68, v68, v132                               // 00000000469C: 0A890944
	v_mul_f32_e32 v69, v69, v133                               // 0000000046A0: 0A8B0B45
	v_mul_f32_e32 v70, v70, v134                               // 0000000046A4: 0A8D0D46
	v_mul_f32_e32 v71, v71, v135                               // 0000000046A8: 0A8F0F47
	s_waitcnt vmcnt(14)                                        // 0000000046AC: BF8C0F7E
	buffer_load_dwordx4 a[16:19], v60, s[12:15], 0 offen offset:1024// 0000000046B0: E05C1400 8083103C
	v_mul_f32_e32 v2, v72, v72                                 // 0000000046B8: 0A049148
	v_mul_f32_e32 v3, v73, v73                                 // 0000000046BC: 0A069349
	v_mul_f32_e32 v4, v74, v74                                 // 0000000046C0: 0A08954A
	v_mul_f32_e32 v5, v75, v75                                 // 0000000046C4: 0A0A974B
	v_fma_f32 v2, v2, s77, v1                                  // 0000000046C8: D1CB0002 04049B02
	v_fma_f32 v3, v3, s77, v1                                  // 0000000046D0: D1CB0003 04049B03
	v_fma_f32 v4, v4, s77, v1                                  // 0000000046D8: D1CB0004 04049B04
	v_fma_f32 v5, v5, s77, v1                                  // 0000000046E0: D1CB0005 04049B05
	v_mul_f32_e32 v2, v2, v72                                  // 0000000046E8: 0A049102
	v_mul_f32_e32 v3, v3, v73                                  // 0000000046EC: 0A069303
	v_mul_f32_e32 v4, v4, v74                                  // 0000000046F0: 0A089504
	v_mul_f32_e32 v5, v5, v75                                  // 0000000046F4: 0A0A9705
	v_mul_f32_e64 v2, v2, s6                                   // 0000000046F8: D1050002 00000D02
	v_mul_f32_e64 v3, v3, s6                                   // 000000004700: D1050003 00000D03
	v_mul_f32_e64 v4, v4, s6                                   // 000000004708: D1050004 00000D04
	v_mul_f32_e64 v5, v5, s6                                   // 000000004710: D1050005 00000D05
	v_exp_f32_e32 v2, v2                                       // 000000004718: 7E044102
	v_exp_f32_e32 v3, v3                                       // 00000000471C: 7E064103
	v_exp_f32_e32 v4, v4                                       // 000000004720: 7E084104
	v_exp_f32_e32 v5, v5                                       // 000000004724: 7E0A4105
	buffer_load_dwordx4 a[20:23], v61, s[12:15], 0 offen offset:1024// 000000004728: E05C1400 8083143D
	v_add_f32_e64 v2, v2, 1.0                                  // 000000004730: D1010002 0001E502
	v_add_f32_e64 v3, v3, 1.0                                  // 000000004738: D1010003 0001E503
	v_add_f32_e64 v4, v4, 1.0                                  // 000000004740: D1010004 0001E504
	v_add_f32_e64 v5, v5, 1.0                                  // 000000004748: D1010005 0001E505
	v_rcp_f32_e32 v2, v2                                       // 000000004750: 7E044502
	v_rcp_f32_e32 v3, v3                                       // 000000004754: 7E064503
	v_rcp_f32_e32 v4, v4                                       // 000000004758: 7E084504
	v_rcp_f32_e32 v5, v5                                       // 00000000475C: 7E0A4505
	v_mul_f32_e32 v72, v72, v2                                 // 000000004760: 0A900548
	v_mul_f32_e32 v73, v73, v3                                 // 000000004764: 0A920749
	v_mul_f32_e32 v74, v74, v4                                 // 000000004768: 0A94094A
	v_mul_f32_e32 v75, v75, v5                                 // 00000000476C: 0A960B4B
	v_mul_f32_e32 v72, v72, v136                               // 000000004770: 0A911148
	v_mul_f32_e32 v73, v73, v137                               // 000000004774: 0A931349
	v_mul_f32_e32 v74, v74, v138                               // 000000004778: 0A95154A
	v_mul_f32_e32 v75, v75, v139                               // 00000000477C: 0A97174B
	s_waitcnt vmcnt(14)                                        // 000000004780: BF8C0F7E
	buffer_load_dwordx4 a[24:27], v62, s[12:15], 0 offen offset:1024// 000000004784: E05C1400 8083183E
	v_mul_f32_e32 v2, v76, v76                                 // 00000000478C: 0A04994C
	v_mul_f32_e32 v3, v77, v77                                 // 000000004790: 0A069B4D
	v_mul_f32_e32 v4, v78, v78                                 // 000000004794: 0A089D4E
	v_mul_f32_e32 v5, v79, v79                                 // 000000004798: 0A0A9F4F
	v_fma_f32 v2, v2, s77, v1                                  // 00000000479C: D1CB0002 04049B02
	v_fma_f32 v3, v3, s77, v1                                  // 0000000047A4: D1CB0003 04049B03
	v_fma_f32 v4, v4, s77, v1                                  // 0000000047AC: D1CB0004 04049B04
	v_fma_f32 v5, v5, s77, v1                                  // 0000000047B4: D1CB0005 04049B05
	v_mul_f32_e32 v2, v2, v76                                  // 0000000047BC: 0A049902
	v_mul_f32_e32 v3, v3, v77                                  // 0000000047C0: 0A069B03
	v_mul_f32_e32 v4, v4, v78                                  // 0000000047C4: 0A089D04
	v_mul_f32_e32 v5, v5, v79                                  // 0000000047C8: 0A0A9F05
	v_mul_f32_e64 v2, v2, s6                                   // 0000000047CC: D1050002 00000D02
	v_mul_f32_e64 v3, v3, s6                                   // 0000000047D4: D1050003 00000D03
	v_mul_f32_e64 v4, v4, s6                                   // 0000000047DC: D1050004 00000D04
	v_mul_f32_e64 v5, v5, s6                                   // 0000000047E4: D1050005 00000D05
	v_exp_f32_e32 v2, v2                                       // 0000000047EC: 7E044102
	v_exp_f32_e32 v3, v3                                       // 0000000047F0: 7E064103
	v_exp_f32_e32 v4, v4                                       // 0000000047F4: 7E084104
	v_exp_f32_e32 v5, v5                                       // 0000000047F8: 7E0A4105
	buffer_load_dwordx4 a[28:31], v63, s[12:15], 0 offen offset:1024// 0000000047FC: E05C1400 80831C3F
	v_add_f32_e64 v2, v2, 1.0                                  // 000000004804: D1010002 0001E502
	v_add_f32_e64 v3, v3, 1.0                                  // 00000000480C: D1010003 0001E503
	v_add_f32_e64 v4, v4, 1.0                                  // 000000004814: D1010004 0001E504
	v_add_f32_e64 v5, v5, 1.0                                  // 00000000481C: D1010005 0001E505
	v_rcp_f32_e32 v2, v2                                       // 000000004824: 7E044502
	v_rcp_f32_e32 v3, v3                                       // 000000004828: 7E064503
	v_rcp_f32_e32 v4, v4                                       // 00000000482C: 7E084504
	v_rcp_f32_e32 v5, v5                                       // 000000004830: 7E0A4505
	v_mul_f32_e32 v76, v76, v2                                 // 000000004834: 0A98054C
	v_mul_f32_e32 v77, v77, v3                                 // 000000004838: 0A9A074D
	v_mul_f32_e32 v78, v78, v4                                 // 00000000483C: 0A9C094E
	v_mul_f32_e32 v79, v79, v5                                 // 000000004840: 0A9E0B4F
	v_mul_f32_e32 v76, v76, v140                               // 000000004844: 0A99194C
	v_mul_f32_e32 v77, v77, v141                               // 000000004848: 0A9B1B4D
	v_mul_f32_e32 v78, v78, v142                               // 00000000484C: 0A9D1D4E
	v_mul_f32_e32 v79, v79, v143                               // 000000004850: 0A9F1F4F
	s_waitcnt vmcnt(14)                                        // 000000004854: BF8C0F7E
	buffer_load_dwordx4 a[32:35], v60, s[12:15], 0 offen offset:2048// 000000004858: E05C1800 8083203C
	v_mul_f32_e32 v2, v80, v80                                 // 000000004860: 0A04A150
	v_mul_f32_e32 v3, v81, v81                                 // 000000004864: 0A06A351
	v_mul_f32_e32 v4, v82, v82                                 // 000000004868: 0A08A552
	v_mul_f32_e32 v5, v83, v83                                 // 00000000486C: 0A0AA753
	v_fma_f32 v2, v2, s77, v1                                  // 000000004870: D1CB0002 04049B02
	v_fma_f32 v3, v3, s77, v1                                  // 000000004878: D1CB0003 04049B03
	v_fma_f32 v4, v4, s77, v1                                  // 000000004880: D1CB0004 04049B04
	v_fma_f32 v5, v5, s77, v1                                  // 000000004888: D1CB0005 04049B05
	v_mul_f32_e32 v2, v2, v80                                  // 000000004890: 0A04A102
	v_mul_f32_e32 v3, v3, v81                                  // 000000004894: 0A06A303
	v_mul_f32_e32 v4, v4, v82                                  // 000000004898: 0A08A504
	v_mul_f32_e32 v5, v5, v83                                  // 00000000489C: 0A0AA705
	v_mul_f32_e64 v2, v2, s6                                   // 0000000048A0: D1050002 00000D02
	v_mul_f32_e64 v3, v3, s6                                   // 0000000048A8: D1050003 00000D03
	v_mul_f32_e64 v4, v4, s6                                   // 0000000048B0: D1050004 00000D04
	v_mul_f32_e64 v5, v5, s6                                   // 0000000048B8: D1050005 00000D05
	v_exp_f32_e32 v2, v2                                       // 0000000048C0: 7E044102
	v_exp_f32_e32 v3, v3                                       // 0000000048C4: 7E064103
	v_exp_f32_e32 v4, v4                                       // 0000000048C8: 7E084104
	v_exp_f32_e32 v5, v5                                       // 0000000048CC: 7E0A4105
	buffer_load_dwordx4 a[36:39], v61, s[12:15], 0 offen offset:2048// 0000000048D0: E05C1800 8083243D
	v_add_f32_e64 v2, v2, 1.0                                  // 0000000048D8: D1010002 0001E502
	v_add_f32_e64 v3, v3, 1.0                                  // 0000000048E0: D1010003 0001E503
	v_add_f32_e64 v4, v4, 1.0                                  // 0000000048E8: D1010004 0001E504
	v_add_f32_e64 v5, v5, 1.0                                  // 0000000048F0: D1010005 0001E505
	v_rcp_f32_e32 v2, v2                                       // 0000000048F8: 7E044502
	v_rcp_f32_e32 v3, v3                                       // 0000000048FC: 7E064503
	v_rcp_f32_e32 v4, v4                                       // 000000004900: 7E084504
	v_rcp_f32_e32 v5, v5                                       // 000000004904: 7E0A4505
	v_mul_f32_e32 v80, v80, v2                                 // 000000004908: 0AA00550
	v_mul_f32_e32 v81, v81, v3                                 // 00000000490C: 0AA20751
	v_mul_f32_e32 v82, v82, v4                                 // 000000004910: 0AA40952
	v_mul_f32_e32 v83, v83, v5                                 // 000000004914: 0AA60B53
	v_mul_f32_e32 v80, v80, v144                               // 000000004918: 0AA12150
	v_mul_f32_e32 v81, v81, v145                               // 00000000491C: 0AA32351
	v_mul_f32_e32 v82, v82, v146                               // 000000004920: 0AA52552
	v_mul_f32_e32 v83, v83, v147                               // 000000004924: 0AA72753
	s_waitcnt vmcnt(14)                                        // 000000004928: BF8C0F7E
	buffer_load_dwordx4 a[40:43], v62, s[12:15], 0 offen offset:2048// 00000000492C: E05C1800 8083283E
	v_mul_f32_e32 v2, v84, v84                                 // 000000004934: 0A04A954
	v_mul_f32_e32 v3, v85, v85                                 // 000000004938: 0A06AB55
	v_mul_f32_e32 v4, v86, v86                                 // 00000000493C: 0A08AD56
	v_mul_f32_e32 v5, v87, v87                                 // 000000004940: 0A0AAF57
	v_fma_f32 v2, v2, s77, v1                                  // 000000004944: D1CB0002 04049B02
	v_fma_f32 v3, v3, s77, v1                                  // 00000000494C: D1CB0003 04049B03
	v_fma_f32 v4, v4, s77, v1                                  // 000000004954: D1CB0004 04049B04
	v_fma_f32 v5, v5, s77, v1                                  // 00000000495C: D1CB0005 04049B05
	v_mul_f32_e32 v2, v2, v84                                  // 000000004964: 0A04A902
	v_mul_f32_e32 v3, v3, v85                                  // 000000004968: 0A06AB03
	v_mul_f32_e32 v4, v4, v86                                  // 00000000496C: 0A08AD04
	v_mul_f32_e32 v5, v5, v87                                  // 000000004970: 0A0AAF05
	v_mul_f32_e64 v2, v2, s6                                   // 000000004974: D1050002 00000D02
	v_mul_f32_e64 v3, v3, s6                                   // 00000000497C: D1050003 00000D03
	v_mul_f32_e64 v4, v4, s6                                   // 000000004984: D1050004 00000D04
	v_mul_f32_e64 v5, v5, s6                                   // 00000000498C: D1050005 00000D05
	v_exp_f32_e32 v2, v2                                       // 000000004994: 7E044102
	v_exp_f32_e32 v3, v3                                       // 000000004998: 7E064103
	v_exp_f32_e32 v4, v4                                       // 00000000499C: 7E084104
	v_exp_f32_e32 v5, v5                                       // 0000000049A0: 7E0A4105
	buffer_load_dwordx4 a[44:47], v63, s[12:15], 0 offen offset:2048// 0000000049A4: E05C1800 80832C3F
	v_add_f32_e64 v2, v2, 1.0                                  // 0000000049AC: D1010002 0001E502
	v_add_f32_e64 v3, v3, 1.0                                  // 0000000049B4: D1010003 0001E503
	v_add_f32_e64 v4, v4, 1.0                                  // 0000000049BC: D1010004 0001E504
	v_add_f32_e64 v5, v5, 1.0                                  // 0000000049C4: D1010005 0001E505
	v_rcp_f32_e32 v2, v2                                       // 0000000049CC: 7E044502
	v_rcp_f32_e32 v3, v3                                       // 0000000049D0: 7E064503
	v_rcp_f32_e32 v4, v4                                       // 0000000049D4: 7E084504
	v_rcp_f32_e32 v5, v5                                       // 0000000049D8: 7E0A4505
	v_mul_f32_e32 v84, v84, v2                                 // 0000000049DC: 0AA80554
	v_mul_f32_e32 v85, v85, v3                                 // 0000000049E0: 0AAA0755
	v_mul_f32_e32 v86, v86, v4                                 // 0000000049E4: 0AAC0956
	v_mul_f32_e32 v87, v87, v5                                 // 0000000049E8: 0AAE0B57
	v_mul_f32_e32 v84, v84, v148                               // 0000000049EC: 0AA92954
	v_mul_f32_e32 v85, v85, v149                               // 0000000049F0: 0AAB2B55
	v_mul_f32_e32 v86, v86, v150                               // 0000000049F4: 0AAD2D56
	v_mul_f32_e32 v87, v87, v151                               // 0000000049F8: 0AAF2F57
	s_waitcnt vmcnt(14)                                        // 0000000049FC: BF8C0F7E
	buffer_load_dwordx4 a[48:51], v60, s[12:15], 0 offen offset:3072// 000000004A00: E05C1C00 8083303C
	v_mul_f32_e32 v2, v88, v88                                 // 000000004A08: 0A04B158
	v_mul_f32_e32 v3, v89, v89                                 // 000000004A0C: 0A06B359
	v_mul_f32_e32 v4, v90, v90                                 // 000000004A10: 0A08B55A
	v_mul_f32_e32 v5, v91, v91                                 // 000000004A14: 0A0AB75B
	v_fma_f32 v2, v2, s77, v1                                  // 000000004A18: D1CB0002 04049B02
	v_fma_f32 v3, v3, s77, v1                                  // 000000004A20: D1CB0003 04049B03
	v_fma_f32 v4, v4, s77, v1                                  // 000000004A28: D1CB0004 04049B04
	v_fma_f32 v5, v5, s77, v1                                  // 000000004A30: D1CB0005 04049B05
	v_mul_f32_e32 v2, v2, v88                                  // 000000004A38: 0A04B102
	v_mul_f32_e32 v3, v3, v89                                  // 000000004A3C: 0A06B303
	v_mul_f32_e32 v4, v4, v90                                  // 000000004A40: 0A08B504
	v_mul_f32_e32 v5, v5, v91                                  // 000000004A44: 0A0AB705
	v_mul_f32_e64 v2, v2, s6                                   // 000000004A48: D1050002 00000D02
	v_mul_f32_e64 v3, v3, s6                                   // 000000004A50: D1050003 00000D03
	v_mul_f32_e64 v4, v4, s6                                   // 000000004A58: D1050004 00000D04
	v_mul_f32_e64 v5, v5, s6                                   // 000000004A60: D1050005 00000D05
	v_exp_f32_e32 v2, v2                                       // 000000004A68: 7E044102
	v_exp_f32_e32 v3, v3                                       // 000000004A6C: 7E064103
	v_exp_f32_e32 v4, v4                                       // 000000004A70: 7E084104
	v_exp_f32_e32 v5, v5                                       // 000000004A74: 7E0A4105
	buffer_load_dwordx4 a[52:55], v61, s[12:15], 0 offen offset:3072// 000000004A78: E05C1C00 8083343D
	v_add_f32_e64 v2, v2, 1.0                                  // 000000004A80: D1010002 0001E502
	v_add_f32_e64 v3, v3, 1.0                                  // 000000004A88: D1010003 0001E503
	v_add_f32_e64 v4, v4, 1.0                                  // 000000004A90: D1010004 0001E504
	v_add_f32_e64 v5, v5, 1.0                                  // 000000004A98: D1010005 0001E505
	v_rcp_f32_e32 v2, v2                                       // 000000004AA0: 7E044502
	v_rcp_f32_e32 v3, v3                                       // 000000004AA4: 7E064503
	v_rcp_f32_e32 v4, v4                                       // 000000004AA8: 7E084504
	v_rcp_f32_e32 v5, v5                                       // 000000004AAC: 7E0A4505
	v_mul_f32_e32 v88, v88, v2                                 // 000000004AB0: 0AB00558
	v_mul_f32_e32 v89, v89, v3                                 // 000000004AB4: 0AB20759
	v_mul_f32_e32 v90, v90, v4                                 // 000000004AB8: 0AB4095A
	v_mul_f32_e32 v91, v91, v5                                 // 000000004ABC: 0AB60B5B
	v_mul_f32_e32 v88, v88, v152                               // 000000004AC0: 0AB13158
	v_mul_f32_e32 v89, v89, v153                               // 000000004AC4: 0AB33359
	v_mul_f32_e32 v90, v90, v154                               // 000000004AC8: 0AB5355A
	v_mul_f32_e32 v91, v91, v155                               // 000000004ACC: 0AB7375B
	s_waitcnt vmcnt(14)                                        // 000000004AD0: BF8C0F7E
	buffer_load_dwordx4 a[56:59], v62, s[12:15], 0 offen offset:3072// 000000004AD4: E05C1C00 8083383E
	v_mul_f32_e32 v2, v92, v92                                 // 000000004ADC: 0A04B95C
	v_mul_f32_e32 v3, v93, v93                                 // 000000004AE0: 0A06BB5D
	v_mul_f32_e32 v4, v94, v94                                 // 000000004AE4: 0A08BD5E
	v_mul_f32_e32 v5, v95, v95                                 // 000000004AE8: 0A0ABF5F
	v_fma_f32 v2, v2, s77, v1                                  // 000000004AEC: D1CB0002 04049B02
	v_fma_f32 v3, v3, s77, v1                                  // 000000004AF4: D1CB0003 04049B03
	v_fma_f32 v4, v4, s77, v1                                  // 000000004AFC: D1CB0004 04049B04
	v_fma_f32 v5, v5, s77, v1                                  // 000000004B04: D1CB0005 04049B05
	v_mul_f32_e32 v2, v2, v92                                  // 000000004B0C: 0A04B902
	v_mul_f32_e32 v3, v3, v93                                  // 000000004B10: 0A06BB03
	v_mul_f32_e32 v4, v4, v94                                  // 000000004B14: 0A08BD04
	v_mul_f32_e32 v5, v5, v95                                  // 000000004B18: 0A0ABF05
	v_mul_f32_e64 v2, v2, s6                                   // 000000004B1C: D1050002 00000D02
	v_mul_f32_e64 v3, v3, s6                                   // 000000004B24: D1050003 00000D03
	v_mul_f32_e64 v4, v4, s6                                   // 000000004B2C: D1050004 00000D04
	v_mul_f32_e64 v5, v5, s6                                   // 000000004B34: D1050005 00000D05
	v_exp_f32_e32 v2, v2                                       // 000000004B3C: 7E044102
	v_exp_f32_e32 v3, v3                                       // 000000004B40: 7E064103
	v_exp_f32_e32 v4, v4                                       // 000000004B44: 7E084104
	v_exp_f32_e32 v5, v5                                       // 000000004B48: 7E0A4105
	buffer_load_dwordx4 a[60:63], v63, s[12:15], 0 offen offset:3072// 000000004B4C: E05C1C00 80833C3F
	v_add_f32_e64 v2, v2, 1.0                                  // 000000004B54: D1010002 0001E502
	v_add_f32_e64 v3, v3, 1.0                                  // 000000004B5C: D1010003 0001E503
	v_add_f32_e64 v4, v4, 1.0                                  // 000000004B64: D1010004 0001E504
	v_add_f32_e64 v5, v5, 1.0                                  // 000000004B6C: D1010005 0001E505
	v_rcp_f32_e32 v2, v2                                       // 000000004B74: 7E044502
	v_rcp_f32_e32 v3, v3                                       // 000000004B78: 7E064503
	v_rcp_f32_e32 v4, v4                                       // 000000004B7C: 7E084504
	v_rcp_f32_e32 v5, v5                                       // 000000004B80: 7E0A4505
	v_mul_f32_e32 v92, v92, v2                                 // 000000004B84: 0AB8055C
	v_mul_f32_e32 v93, v93, v3                                 // 000000004B88: 0ABA075D
	v_mul_f32_e32 v94, v94, v4                                 // 000000004B8C: 0ABC095E
	v_mul_f32_e32 v95, v95, v5                                 // 000000004B90: 0ABE0B5F
	v_mul_f32_e32 v92, v92, v156                               // 000000004B94: 0AB9395C
	v_mul_f32_e32 v93, v93, v157                               // 000000004B98: 0ABB3B5D
	v_mul_f32_e32 v94, v94, v158                               // 000000004B9C: 0ABD3D5E
	v_mul_f32_e32 v95, v95, v159                               // 000000004BA0: 0ABF3F5F
	s_waitcnt vmcnt(14)                                        // 000000004BA4: BF8C0F7E
	v_mul_f32_e32 v2, v96, v96                                 // 000000004BA8: 0A04C160
	v_mul_f32_e32 v3, v97, v97                                 // 000000004BAC: 0A06C361
	v_mul_f32_e32 v4, v98, v98                                 // 000000004BB0: 0A08C562
	v_mul_f32_e32 v5, v99, v99                                 // 000000004BB4: 0A0AC763
	v_fma_f32 v2, v2, s77, v1                                  // 000000004BB8: D1CB0002 04049B02
	v_fma_f32 v3, v3, s77, v1                                  // 000000004BC0: D1CB0003 04049B03
	v_fma_f32 v4, v4, s77, v1                                  // 000000004BC8: D1CB0004 04049B04
	v_fma_f32 v5, v5, s77, v1                                  // 000000004BD0: D1CB0005 04049B05
	v_mul_f32_e32 v2, v2, v96                                  // 000000004BD8: 0A04C102
	v_mul_f32_e32 v3, v3, v97                                  // 000000004BDC: 0A06C303
	v_mul_f32_e32 v4, v4, v98                                  // 000000004BE0: 0A08C504
	v_mul_f32_e32 v5, v5, v99                                  // 000000004BE4: 0A0AC705
	v_mul_f32_e64 v2, v2, s6                                   // 000000004BE8: D1050002 00000D02
	v_mul_f32_e64 v3, v3, s6                                   // 000000004BF0: D1050003 00000D03
	v_mul_f32_e64 v4, v4, s6                                   // 000000004BF8: D1050004 00000D04
	v_mul_f32_e64 v5, v5, s6                                   // 000000004C00: D1050005 00000D05
	v_exp_f32_e32 v2, v2                                       // 000000004C08: 7E044102
	v_exp_f32_e32 v3, v3                                       // 000000004C0C: 7E064103
	v_exp_f32_e32 v4, v4                                       // 000000004C10: 7E084104
	v_exp_f32_e32 v5, v5                                       // 000000004C14: 7E0A4105
	v_add_f32_e64 v2, v2, 1.0                                  // 000000004C18: D1010002 0001E502
	v_add_f32_e64 v3, v3, 1.0                                  // 000000004C20: D1010003 0001E503
	v_add_f32_e64 v4, v4, 1.0                                  // 000000004C28: D1010004 0001E504
	v_add_f32_e64 v5, v5, 1.0                                  // 000000004C30: D1010005 0001E505
	v_rcp_f32_e32 v2, v2                                       // 000000004C38: 7E044502
	v_rcp_f32_e32 v3, v3                                       // 000000004C3C: 7E064503
	v_rcp_f32_e32 v4, v4                                       // 000000004C40: 7E084504
	v_rcp_f32_e32 v5, v5                                       // 000000004C44: 7E0A4505
	v_mul_f32_e32 v96, v96, v2                                 // 000000004C48: 0AC00560
	v_mul_f32_e32 v97, v97, v3                                 // 000000004C4C: 0AC20761
	v_mul_f32_e32 v98, v98, v4                                 // 000000004C50: 0AC40962
	v_mul_f32_e32 v99, v99, v5                                 // 000000004C54: 0AC60B63
	v_mul_f32_e32 v96, v96, v160                               // 000000004C58: 0AC14160
	v_mul_f32_e32 v97, v97, v161                               // 000000004C5C: 0AC34361
	v_mul_f32_e32 v98, v98, v162                               // 000000004C60: 0AC54562
	v_mul_f32_e32 v99, v99, v163                               // 000000004C64: 0AC74763
	s_waitcnt vmcnt(14)                                        // 000000004C68: BF8C0F7E
	v_mul_f32_e32 v2, v100, v100                               // 000000004C6C: 0A04C964
	v_mul_f32_e32 v3, v101, v101                               // 000000004C70: 0A06CB65
	v_mul_f32_e32 v4, v102, v102                               // 000000004C74: 0A08CD66
	v_mul_f32_e32 v5, v103, v103                               // 000000004C78: 0A0ACF67
	v_fma_f32 v2, v2, s77, v1                                  // 000000004C7C: D1CB0002 04049B02
	v_fma_f32 v3, v3, s77, v1                                  // 000000004C84: D1CB0003 04049B03
	v_fma_f32 v4, v4, s77, v1                                  // 000000004C8C: D1CB0004 04049B04
	v_fma_f32 v5, v5, s77, v1                                  // 000000004C94: D1CB0005 04049B05
	v_mul_f32_e32 v2, v2, v100                                 // 000000004C9C: 0A04C902
	v_mul_f32_e32 v3, v3, v101                                 // 000000004CA0: 0A06CB03
	v_mul_f32_e32 v4, v4, v102                                 // 000000004CA4: 0A08CD04
	v_mul_f32_e32 v5, v5, v103                                 // 000000004CA8: 0A0ACF05
	v_mul_f32_e64 v2, v2, s6                                   // 000000004CAC: D1050002 00000D02
	v_mul_f32_e64 v3, v3, s6                                   // 000000004CB4: D1050003 00000D03
	v_mul_f32_e64 v4, v4, s6                                   // 000000004CBC: D1050004 00000D04
	v_mul_f32_e64 v5, v5, s6                                   // 000000004CC4: D1050005 00000D05
	v_exp_f32_e32 v2, v2                                       // 000000004CCC: 7E044102
	v_exp_f32_e32 v3, v3                                       // 000000004CD0: 7E064103
	v_exp_f32_e32 v4, v4                                       // 000000004CD4: 7E084104
	v_exp_f32_e32 v5, v5                                       // 000000004CD8: 7E0A4105
	v_add_f32_e64 v2, v2, 1.0                                  // 000000004CDC: D1010002 0001E502
	v_add_f32_e64 v3, v3, 1.0                                  // 000000004CE4: D1010003 0001E503
	v_add_f32_e64 v4, v4, 1.0                                  // 000000004CEC: D1010004 0001E504
	v_add_f32_e64 v5, v5, 1.0                                  // 000000004CF4: D1010005 0001E505
	v_rcp_f32_e32 v2, v2                                       // 000000004CFC: 7E044502
	v_rcp_f32_e32 v3, v3                                       // 000000004D00: 7E064503
	v_rcp_f32_e32 v4, v4                                       // 000000004D04: 7E084504
	v_rcp_f32_e32 v5, v5                                       // 000000004D08: 7E0A4505
	v_mul_f32_e32 v100, v100, v2                               // 000000004D0C: 0AC80564
	v_mul_f32_e32 v101, v101, v3                               // 000000004D10: 0ACA0765
	v_mul_f32_e32 v102, v102, v4                               // 000000004D14: 0ACC0966
	v_mul_f32_e32 v103, v103, v5                               // 000000004D18: 0ACE0B67
	v_mul_f32_e32 v100, v100, v164                             // 000000004D1C: 0AC94964
	v_mul_f32_e32 v101, v101, v165                             // 000000004D20: 0ACB4B65
	v_mul_f32_e32 v102, v102, v166                             // 000000004D24: 0ACD4D66
	v_mul_f32_e32 v103, v103, v167                             // 000000004D28: 0ACF4F67
	s_waitcnt vmcnt(14)                                        // 000000004D2C: BF8C0F7E
	v_mul_f32_e32 v2, v104, v104                               // 000000004D30: 0A04D168
	v_mul_f32_e32 v3, v105, v105                               // 000000004D34: 0A06D369
	v_mul_f32_e32 v4, v106, v106                               // 000000004D38: 0A08D56A
	v_mul_f32_e32 v5, v107, v107                               // 000000004D3C: 0A0AD76B
	v_fma_f32 v2, v2, s77, v1                                  // 000000004D40: D1CB0002 04049B02
	v_fma_f32 v3, v3, s77, v1                                  // 000000004D48: D1CB0003 04049B03
	v_fma_f32 v4, v4, s77, v1                                  // 000000004D50: D1CB0004 04049B04
	v_fma_f32 v5, v5, s77, v1                                  // 000000004D58: D1CB0005 04049B05
	v_mul_f32_e32 v2, v2, v104                                 // 000000004D60: 0A04D102
	v_mul_f32_e32 v3, v3, v105                                 // 000000004D64: 0A06D303
	v_mul_f32_e32 v4, v4, v106                                 // 000000004D68: 0A08D504
	v_mul_f32_e32 v5, v5, v107                                 // 000000004D6C: 0A0AD705
	v_mul_f32_e64 v2, v2, s6                                   // 000000004D70: D1050002 00000D02
	v_mul_f32_e64 v3, v3, s6                                   // 000000004D78: D1050003 00000D03
	v_mul_f32_e64 v4, v4, s6                                   // 000000004D80: D1050004 00000D04
	v_mul_f32_e64 v5, v5, s6                                   // 000000004D88: D1050005 00000D05
	v_exp_f32_e32 v2, v2                                       // 000000004D90: 7E044102
	v_exp_f32_e32 v3, v3                                       // 000000004D94: 7E064103
	v_exp_f32_e32 v4, v4                                       // 000000004D98: 7E084104
	v_exp_f32_e32 v5, v5                                       // 000000004D9C: 7E0A4105
	v_add_f32_e64 v2, v2, 1.0                                  // 000000004DA0: D1010002 0001E502
	v_add_f32_e64 v3, v3, 1.0                                  // 000000004DA8: D1010003 0001E503
	v_add_f32_e64 v4, v4, 1.0                                  // 000000004DB0: D1010004 0001E504
	v_add_f32_e64 v5, v5, 1.0                                  // 000000004DB8: D1010005 0001E505
	v_rcp_f32_e32 v2, v2                                       // 000000004DC0: 7E044502
	v_rcp_f32_e32 v3, v3                                       // 000000004DC4: 7E064503
	v_rcp_f32_e32 v4, v4                                       // 000000004DC8: 7E084504
	v_rcp_f32_e32 v5, v5                                       // 000000004DCC: 7E0A4505
	v_mul_f32_e32 v104, v104, v2                               // 000000004DD0: 0AD00568
	v_mul_f32_e32 v105, v105, v3                               // 000000004DD4: 0AD20769
	v_mul_f32_e32 v106, v106, v4                               // 000000004DD8: 0AD4096A
	v_mul_f32_e32 v107, v107, v5                               // 000000004DDC: 0AD60B6B
	v_mul_f32_e32 v104, v104, v168                             // 000000004DE0: 0AD15168
	v_mul_f32_e32 v105, v105, v169                             // 000000004DE4: 0AD35369
	v_mul_f32_e32 v106, v106, v170                             // 000000004DE8: 0AD5556A
	v_mul_f32_e32 v107, v107, v171                             // 000000004DEC: 0AD7576B
	s_waitcnt vmcnt(14)                                        // 000000004DF0: BF8C0F7E
	v_mul_f32_e32 v2, v108, v108                               // 000000004DF4: 0A04D96C
	v_mul_f32_e32 v3, v109, v109                               // 000000004DF8: 0A06DB6D
	v_mul_f32_e32 v4, v110, v110                               // 000000004DFC: 0A08DD6E
	v_mul_f32_e32 v5, v111, v111                               // 000000004E00: 0A0ADF6F
	v_fma_f32 v2, v2, s77, v1                                  // 000000004E04: D1CB0002 04049B02
	v_fma_f32 v3, v3, s77, v1                                  // 000000004E0C: D1CB0003 04049B03
	v_fma_f32 v4, v4, s77, v1                                  // 000000004E14: D1CB0004 04049B04
	v_fma_f32 v5, v5, s77, v1                                  // 000000004E1C: D1CB0005 04049B05
	v_mul_f32_e32 v2, v2, v108                                 // 000000004E24: 0A04D902
	v_mul_f32_e32 v3, v3, v109                                 // 000000004E28: 0A06DB03
	v_mul_f32_e32 v4, v4, v110                                 // 000000004E2C: 0A08DD04
	v_mul_f32_e32 v5, v5, v111                                 // 000000004E30: 0A0ADF05
	v_mul_f32_e64 v2, v2, s6                                   // 000000004E34: D1050002 00000D02
	v_mul_f32_e64 v3, v3, s6                                   // 000000004E3C: D1050003 00000D03
	v_mul_f32_e64 v4, v4, s6                                   // 000000004E44: D1050004 00000D04
	v_mul_f32_e64 v5, v5, s6                                   // 000000004E4C: D1050005 00000D05
	v_exp_f32_e32 v2, v2                                       // 000000004E54: 7E044102
	v_exp_f32_e32 v3, v3                                       // 000000004E58: 7E064103
	v_exp_f32_e32 v4, v4                                       // 000000004E5C: 7E084104
	v_exp_f32_e32 v5, v5                                       // 000000004E60: 7E0A4105
	v_add_f32_e64 v2, v2, 1.0                                  // 000000004E64: D1010002 0001E502
	v_add_f32_e64 v3, v3, 1.0                                  // 000000004E6C: D1010003 0001E503
	v_add_f32_e64 v4, v4, 1.0                                  // 000000004E74: D1010004 0001E504
	v_add_f32_e64 v5, v5, 1.0                                  // 000000004E7C: D1010005 0001E505
	v_rcp_f32_e32 v2, v2                                       // 000000004E84: 7E044502
	v_rcp_f32_e32 v3, v3                                       // 000000004E88: 7E064503
	v_rcp_f32_e32 v4, v4                                       // 000000004E8C: 7E084504
	v_rcp_f32_e32 v5, v5                                       // 000000004E90: 7E0A4505
	v_mul_f32_e32 v108, v108, v2                               // 000000004E94: 0AD8056C
	v_mul_f32_e32 v109, v109, v3                               // 000000004E98: 0ADA076D
	v_mul_f32_e32 v110, v110, v4                               // 000000004E9C: 0ADC096E
	v_mul_f32_e32 v111, v111, v5                               // 000000004EA0: 0ADE0B6F
	v_mul_f32_e32 v108, v108, v172                             // 000000004EA4: 0AD9596C
	v_mul_f32_e32 v109, v109, v173                             // 000000004EA8: 0ADB5B6D
	v_mul_f32_e32 v110, v110, v174                             // 000000004EAC: 0ADD5D6E
	v_mul_f32_e32 v111, v111, v175                             // 000000004EB0: 0ADF5F6F
	s_waitcnt vmcnt(14)                                        // 000000004EB4: BF8C0F7E
	v_mul_f32_e32 v2, v112, v112                               // 000000004EB8: 0A04E170
	v_mul_f32_e32 v3, v113, v113                               // 000000004EBC: 0A06E371
	v_mul_f32_e32 v4, v114, v114                               // 000000004EC0: 0A08E572
	v_mul_f32_e32 v5, v115, v115                               // 000000004EC4: 0A0AE773
	v_fma_f32 v2, v2, s77, v1                                  // 000000004EC8: D1CB0002 04049B02
	v_fma_f32 v3, v3, s77, v1                                  // 000000004ED0: D1CB0003 04049B03
	v_fma_f32 v4, v4, s77, v1                                  // 000000004ED8: D1CB0004 04049B04
	v_fma_f32 v5, v5, s77, v1                                  // 000000004EE0: D1CB0005 04049B05
	v_mul_f32_e32 v2, v2, v112                                 // 000000004EE8: 0A04E102
	v_mul_f32_e32 v3, v3, v113                                 // 000000004EEC: 0A06E303
	v_mul_f32_e32 v4, v4, v114                                 // 000000004EF0: 0A08E504
	v_mul_f32_e32 v5, v5, v115                                 // 000000004EF4: 0A0AE705
	v_mul_f32_e64 v2, v2, s6                                   // 000000004EF8: D1050002 00000D02
	v_mul_f32_e64 v3, v3, s6                                   // 000000004F00: D1050003 00000D03
	v_mul_f32_e64 v4, v4, s6                                   // 000000004F08: D1050004 00000D04
	v_mul_f32_e64 v5, v5, s6                                   // 000000004F10: D1050005 00000D05
	v_exp_f32_e32 v2, v2                                       // 000000004F18: 7E044102
	v_exp_f32_e32 v3, v3                                       // 000000004F1C: 7E064103
	v_exp_f32_e32 v4, v4                                       // 000000004F20: 7E084104
	v_exp_f32_e32 v5, v5                                       // 000000004F24: 7E0A4105
	v_add_f32_e64 v2, v2, 1.0                                  // 000000004F28: D1010002 0001E502
	v_add_f32_e64 v3, v3, 1.0                                  // 000000004F30: D1010003 0001E503
	v_add_f32_e64 v4, v4, 1.0                                  // 000000004F38: D1010004 0001E504
	v_add_f32_e64 v5, v5, 1.0                                  // 000000004F40: D1010005 0001E505
	v_rcp_f32_e32 v2, v2                                       // 000000004F48: 7E044502
	v_rcp_f32_e32 v3, v3                                       // 000000004F4C: 7E064503
	v_rcp_f32_e32 v4, v4                                       // 000000004F50: 7E084504
	v_rcp_f32_e32 v5, v5                                       // 000000004F54: 7E0A4505
	v_mul_f32_e32 v112, v112, v2                               // 000000004F58: 0AE00570
	v_mul_f32_e32 v113, v113, v3                               // 000000004F5C: 0AE20771
	v_mul_f32_e32 v114, v114, v4                               // 000000004F60: 0AE40972
	v_mul_f32_e32 v115, v115, v5                               // 000000004F64: 0AE60B73
	v_mul_f32_e32 v112, v112, v176                             // 000000004F68: 0AE16170
	v_mul_f32_e32 v113, v113, v177                             // 000000004F6C: 0AE36371
	v_mul_f32_e32 v114, v114, v178                             // 000000004F70: 0AE56572
	v_mul_f32_e32 v115, v115, v179                             // 000000004F74: 0AE76773
	s_waitcnt vmcnt(14)                                        // 000000004F78: BF8C0F7E
	v_mul_f32_e32 v2, v116, v116                               // 000000004F7C: 0A04E974
	v_mul_f32_e32 v3, v117, v117                               // 000000004F80: 0A06EB75
	v_mul_f32_e32 v4, v118, v118                               // 000000004F84: 0A08ED76
	v_mul_f32_e32 v5, v119, v119                               // 000000004F88: 0A0AEF77
	v_fma_f32 v2, v2, s77, v1                                  // 000000004F8C: D1CB0002 04049B02
	v_fma_f32 v3, v3, s77, v1                                  // 000000004F94: D1CB0003 04049B03
	v_fma_f32 v4, v4, s77, v1                                  // 000000004F9C: D1CB0004 04049B04
	v_fma_f32 v5, v5, s77, v1                                  // 000000004FA4: D1CB0005 04049B05
	v_mul_f32_e32 v2, v2, v116                                 // 000000004FAC: 0A04E902
	v_mul_f32_e32 v3, v3, v117                                 // 000000004FB0: 0A06EB03
	v_mul_f32_e32 v4, v4, v118                                 // 000000004FB4: 0A08ED04
	v_mul_f32_e32 v5, v5, v119                                 // 000000004FB8: 0A0AEF05
	v_mul_f32_e64 v2, v2, s6                                   // 000000004FBC: D1050002 00000D02
	v_mul_f32_e64 v3, v3, s6                                   // 000000004FC4: D1050003 00000D03
	v_mul_f32_e64 v4, v4, s6                                   // 000000004FCC: D1050004 00000D04
	v_mul_f32_e64 v5, v5, s6                                   // 000000004FD4: D1050005 00000D05
	v_exp_f32_e32 v2, v2                                       // 000000004FDC: 7E044102
	v_exp_f32_e32 v3, v3                                       // 000000004FE0: 7E064103
	v_exp_f32_e32 v4, v4                                       // 000000004FE4: 7E084104
	v_exp_f32_e32 v5, v5                                       // 000000004FE8: 7E0A4105
	v_add_f32_e64 v2, v2, 1.0                                  // 000000004FEC: D1010002 0001E502
	v_add_f32_e64 v3, v3, 1.0                                  // 000000004FF4: D1010003 0001E503
	v_add_f32_e64 v4, v4, 1.0                                  // 000000004FFC: D1010004 0001E504
	v_add_f32_e64 v5, v5, 1.0                                  // 000000005004: D1010005 0001E505
	v_rcp_f32_e32 v2, v2                                       // 00000000500C: 7E044502
	v_rcp_f32_e32 v3, v3                                       // 000000005010: 7E064503
	v_rcp_f32_e32 v4, v4                                       // 000000005014: 7E084504
	v_rcp_f32_e32 v5, v5                                       // 000000005018: 7E0A4505
	v_mul_f32_e32 v116, v116, v2                               // 00000000501C: 0AE80574
	v_mul_f32_e32 v117, v117, v3                               // 000000005020: 0AEA0775
	v_mul_f32_e32 v118, v118, v4                               // 000000005024: 0AEC0976
	v_mul_f32_e32 v119, v119, v5                               // 000000005028: 0AEE0B77
	v_mul_f32_e32 v116, v116, v180                             // 00000000502C: 0AE96974
	v_mul_f32_e32 v117, v117, v181                             // 000000005030: 0AEB6B75
	v_mul_f32_e32 v118, v118, v182                             // 000000005034: 0AED6D76
	v_mul_f32_e32 v119, v119, v183                             // 000000005038: 0AEF6F77
	s_waitcnt vmcnt(14)                                        // 00000000503C: BF8C0F7E
	v_mul_f32_e32 v2, v120, v120                               // 000000005040: 0A04F178
	v_mul_f32_e32 v3, v121, v121                               // 000000005044: 0A06F379
	v_mul_f32_e32 v4, v122, v122                               // 000000005048: 0A08F57A
	v_mul_f32_e32 v5, v123, v123                               // 00000000504C: 0A0AF77B
	v_fma_f32 v2, v2, s77, v1                                  // 000000005050: D1CB0002 04049B02
	v_fma_f32 v3, v3, s77, v1                                  // 000000005058: D1CB0003 04049B03
	v_fma_f32 v4, v4, s77, v1                                  // 000000005060: D1CB0004 04049B04
	v_fma_f32 v5, v5, s77, v1                                  // 000000005068: D1CB0005 04049B05
	v_mul_f32_e32 v2, v2, v120                                 // 000000005070: 0A04F102
	v_mul_f32_e32 v3, v3, v121                                 // 000000005074: 0A06F303
	v_mul_f32_e32 v4, v4, v122                                 // 000000005078: 0A08F504
	v_mul_f32_e32 v5, v5, v123                                 // 00000000507C: 0A0AF705
	v_mul_f32_e64 v2, v2, s6                                   // 000000005080: D1050002 00000D02
	v_mul_f32_e64 v3, v3, s6                                   // 000000005088: D1050003 00000D03
	v_mul_f32_e64 v4, v4, s6                                   // 000000005090: D1050004 00000D04
	v_mul_f32_e64 v5, v5, s6                                   // 000000005098: D1050005 00000D05
	v_exp_f32_e32 v2, v2                                       // 0000000050A0: 7E044102
	v_exp_f32_e32 v3, v3                                       // 0000000050A4: 7E064103
	v_exp_f32_e32 v4, v4                                       // 0000000050A8: 7E084104
	v_exp_f32_e32 v5, v5                                       // 0000000050AC: 7E0A4105
	v_add_f32_e64 v2, v2, 1.0                                  // 0000000050B0: D1010002 0001E502
	v_add_f32_e64 v3, v3, 1.0                                  // 0000000050B8: D1010003 0001E503
	v_add_f32_e64 v4, v4, 1.0                                  // 0000000050C0: D1010004 0001E504
	v_add_f32_e64 v5, v5, 1.0                                  // 0000000050C8: D1010005 0001E505
	v_rcp_f32_e32 v2, v2                                       // 0000000050D0: 7E044502
	v_rcp_f32_e32 v3, v3                                       // 0000000050D4: 7E064503
	v_rcp_f32_e32 v4, v4                                       // 0000000050D8: 7E084504
	v_rcp_f32_e32 v5, v5                                       // 0000000050DC: 7E0A4505
	v_mul_f32_e32 v120, v120, v2                               // 0000000050E0: 0AF00578
	v_mul_f32_e32 v121, v121, v3                               // 0000000050E4: 0AF20779
	v_mul_f32_e32 v122, v122, v4                               // 0000000050E8: 0AF4097A
	v_mul_f32_e32 v123, v123, v5                               // 0000000050EC: 0AF60B7B
	v_mul_f32_e32 v120, v120, v184                             // 0000000050F0: 0AF17178
	v_mul_f32_e32 v121, v121, v185                             // 0000000050F4: 0AF37379
	v_mul_f32_e32 v122, v122, v186                             // 0000000050F8: 0AF5757A
	v_mul_f32_e32 v123, v123, v187                             // 0000000050FC: 0AF7777B
	s_waitcnt vmcnt(14)                                        // 000000005100: BF8C0F7E
	v_mul_f32_e32 v2, v124, v124                               // 000000005104: 0A04F97C
	v_mul_f32_e32 v3, v125, v125                               // 000000005108: 0A06FB7D
	v_mul_f32_e32 v4, v126, v126                               // 00000000510C: 0A08FD7E
	v_mul_f32_e32 v5, v127, v127                               // 000000005110: 0A0AFF7F
	v_fma_f32 v2, v2, s77, v1                                  // 000000005114: D1CB0002 04049B02
	v_fma_f32 v3, v3, s77, v1                                  // 00000000511C: D1CB0003 04049B03
	v_fma_f32 v4, v4, s77, v1                                  // 000000005124: D1CB0004 04049B04
	v_fma_f32 v5, v5, s77, v1                                  // 00000000512C: D1CB0005 04049B05
	v_mul_f32_e32 v2, v2, v124                                 // 000000005134: 0A04F902
	v_mul_f32_e32 v3, v3, v125                                 // 000000005138: 0A06FB03
	v_mul_f32_e32 v4, v4, v126                                 // 00000000513C: 0A08FD04
	v_mul_f32_e32 v5, v5, v127                                 // 000000005140: 0A0AFF05
	v_mul_f32_e64 v2, v2, s6                                   // 000000005144: D1050002 00000D02
	v_mul_f32_e64 v3, v3, s6                                   // 00000000514C: D1050003 00000D03
	v_mul_f32_e64 v4, v4, s6                                   // 000000005154: D1050004 00000D04
	v_mul_f32_e64 v5, v5, s6                                   // 00000000515C: D1050005 00000D05
	v_exp_f32_e32 v2, v2                                       // 000000005164: 7E044102
	v_exp_f32_e32 v3, v3                                       // 000000005168: 7E064103
	v_exp_f32_e32 v4, v4                                       // 00000000516C: 7E084104
	v_exp_f32_e32 v5, v5                                       // 000000005170: 7E0A4105
	v_add_f32_e64 v2, v2, 1.0                                  // 000000005174: D1010002 0001E502
	v_add_f32_e64 v3, v3, 1.0                                  // 00000000517C: D1010003 0001E503
	v_add_f32_e64 v4, v4, 1.0                                  // 000000005184: D1010004 0001E504
	v_add_f32_e64 v5, v5, 1.0                                  // 00000000518C: D1010005 0001E505
	v_rcp_f32_e32 v2, v2                                       // 000000005194: 7E044502
	v_rcp_f32_e32 v3, v3                                       // 000000005198: 7E064503
	v_rcp_f32_e32 v4, v4                                       // 00000000519C: 7E084504
	v_rcp_f32_e32 v5, v5                                       // 0000000051A0: 7E0A4505
	v_mul_f32_e32 v124, v124, v2                               // 0000000051A4: 0AF8057C
	v_mul_f32_e32 v125, v125, v3                               // 0000000051A8: 0AFA077D
	v_mul_f32_e32 v126, v126, v4                               // 0000000051AC: 0AFC097E
	v_mul_f32_e32 v127, v127, v5                               // 0000000051B0: 0AFE0B7F
	v_mul_f32_e32 v124, v124, v188                             // 0000000051B4: 0AF9797C
	v_mul_f32_e32 v125, v125, v189                             // 0000000051B8: 0AFB7B7D
	v_mul_f32_e32 v126, v126, v190                             // 0000000051BC: 0AFD7D7E
	v_mul_f32_e32 v127, v127, v191                             // 0000000051C0: 0AFF7F7F
	v_lshlrev_b32_e32 v2, 2, v0                                // 0000000051C4: 24040082
	s_mul_i32 s60, s82, s71                                    // 0000000051C8: 923C4752
	v_add_u32_e64 v144, v2, s60                                // 0000000051CC: D1340090 00007902
	v_mov_b32_e32 v145, 0                                      // 0000000051D4: 7F220280
	s_mul_i32 s60, s83, s71                                    // 0000000051D8: 923C4753
	v_add_u32_e64 v146, v2, s60                                // 0000000051DC: D1340092 00007902
	v_mov_b32_e32 v147, 0                                      // 0000000051E4: 7F260280
	s_mul_i32 s60, s84, s71                                    // 0000000051E8: 923C4754
	v_add_u32_e64 v148, v2, s60                                // 0000000051EC: D1340094 00007902
	v_mov_b32_e32 v149, 0                                      // 0000000051F4: 7F2A0280
	s_mul_i32 s60, s85, s71                                    // 0000000051F8: 923C4755
	v_add_u32_e64 v150, v2, s60                                // 0000000051FC: D1340096 00007902
	v_mov_b32_e32 v151, 0                                      // 000000005204: 7F2E0280
	s_mul_i32 s60, s86, s71                                    // 000000005208: 923C4756
	v_add_u32_e64 v152, v2, s60                                // 00000000520C: D1340098 00007902
	v_mov_b32_e32 v153, 0                                      // 000000005214: 7F320280
	s_mul_i32 s60, s87, s71                                    // 000000005218: 923C4757
	v_add_u32_e64 v154, v2, s60                                // 00000000521C: D134009A 00007902
	v_mov_b32_e32 v155, 0                                      // 000000005224: 7F360280
	s_mul_i32 s60, s88, s71                                    // 000000005228: 923C4758
	v_add_u32_e64 v156, v2, s60                                // 00000000522C: D134009C 00007902
	v_mov_b32_e32 v157, 0                                      // 000000005234: 7F3A0280
	s_mul_i32 s60, s89, s71                                    // 000000005238: 923C4759
	v_add_u32_e64 v158, v2, s60                                // 00000000523C: D134009E 00007902
	v_mov_b32_e32 v159, 0                                      // 000000005244: 7F3E0280
	buffer_load_dword v25, v10, s[16:19], 0 offen              // 000000005248: E0501000 8004190A
	buffer_load_dword v26, v11, s[16:19], 0 offen              // 000000005250: E0501000 80041A0B
	buffer_load_dword v27, v10, s[16:19], 0 offen offset:256   // 000000005258: E0501100 80041B0A
	buffer_load_dword v28, v11, s[16:19], 0 offen offset:256   // 000000005260: E0501100 80041C0B
	v_mov_b32_e32 v43, 0x358637bd                              // 000000005268: 7E5602FF 358637BD
	v_mov_b32_e32 v44, 0x358637bd                              // 000000005270: 7E5802FF 358637BD
	v_max3_f32 v43, |v64|, |v65|, v43                          // 000000005278: D1D3032B 04AE8340
	v_max3_f32 v43, |v66|, |v67|, v43                          // 000000005280: D1D3032B 04AE8742
	v_max3_f32 v43, |v68|, |v69|, v43                          // 000000005288: D1D3032B 04AE8B44
	v_max3_f32 v43, |v70|, |v71|, v43                          // 000000005290: D1D3032B 04AE8F46
	v_max3_f32 v44, |v96|, |v97|, v44                          // 000000005298: D1D3032C 04B2C360
	v_max3_f32 v44, |v98|, |v99|, v44                          // 0000000052A0: D1D3032C 04B2C762
	v_max3_f32 v44, |v100|, |v101|, v44                        // 0000000052A8: D1D3032C 04B2CB64
	v_max3_f32 v44, |v102|, |v103|, v44                        // 0000000052B0: D1D3032C 04B2CF66
	v_mov_b32_e32 v2, v43                                      // 0000000052B8: 7E04032B
	s_nop 1                                                    // 0000000052BC: BF800001
	v_permlane32_swap_b32_e32 v2, v43                          // 0000000052C0: 7E04B52B
	v_max_f32_e32 v43, v2, v43                                 // 0000000052C4: 16565702
	v_mov_b32_e32 v2, v43                                      // 0000000052C8: 7E04032B
	s_nop 1                                                    // 0000000052CC: BF800001
	v_permlane16_swap_b32_e32 v2, v43                          // 0000000052D0: 7E04B32B
	v_max_f32_e32 v43, v2, v43                                 // 0000000052D4: 16565702
	v_mov_b32_e32 v2, v44                                      // 0000000052D8: 7E04032C
	s_nop 1                                                    // 0000000052DC: BF800001
	v_permlane32_swap_b32_e32 v2, v44                          // 0000000052E0: 7E04B52C
	v_max_f32_e32 v44, v2, v44                                 // 0000000052E4: 16585902
	v_mov_b32_e32 v2, v44                                      // 0000000052E8: 7E04032C
	s_nop 1                                                    // 0000000052EC: BF800001
	v_permlane16_swap_b32_e32 v2, v44                          // 0000000052F0: 7E04B32C
	v_max_f32_e32 v44, v2, v44                                 // 0000000052F4: 16585902
	v_mov_b32_e32 v2, 0x3e800000                               // 0000000052F8: 7E0402FF 3E800000
	v_mul_f32_e32 v43, v2, v43                                 // 000000005300: 0A565702
	v_mul_f32_e32 v44, v2, v44                                 // 000000005304: 0A585902
	v_mov_b32_e32 v1, 0x7fff0000                               // 000000005308: 7E0202FF 7FFF0000
	v_mov_b32_e32 v5, 0x7fbfffff                               // 000000005310: 7E0A02FF 7FBFFFFF
	v_bfe_u32 v2, v43, 22, 1                                   // 000000005318: D1C80002 02052D2B
	v_and_b32_e32 v3, v43, v5                                  // 000000005320: 26060B2B
	v_cmp_eq_u32_e64 s[60:61], v3, 0                           // 000000005324: D0CA003C 00010103
	v_cndmask_b32_e64 v4, 1, 0, s[60:61]                       // 00000000532C: D1000004 00F10081
	v_and_b32_e32 v4, v4, v2                                   // 000000005334: 26080504
	v_bfe_u32 v5, v43, 23, 8                                   // 000000005338: D1C80005 02212F2B
	v_add_u32_e32 v5, v5, v4                                   // 000000005340: 680A0905
	v_cmp_u_f32_e64 s[60:61], v43, v43                         // 000000005344: D048003C 0002572B
	v_lshlrev_b32_e32 v43, 23, v5                              // 00000000534C: 24560A97
	v_cndmask_b32_e64 v43, v43, v1, s[60:61]                   // 000000005350: D100002B 00F2032B
	v_mov_b32_e32 v5, 0x7fbfffff                               // 000000005358: 7E0A02FF 7FBFFFFF
	v_bfe_u32 v2, v44, 22, 1                                   // 000000005360: D1C80002 02052D2C
	v_and_b32_e32 v3, v44, v5                                  // 000000005368: 26060B2C
	v_cmp_eq_u32_e64 s[60:61], v3, 0                           // 00000000536C: D0CA003C 00010103
	v_cndmask_b32_e64 v4, 1, 0, s[60:61]                       // 000000005374: D1000004 00F10081
	v_and_b32_e32 v4, v4, v2                                   // 00000000537C: 26080504
	v_bfe_u32 v5, v44, 23, 8                                   // 000000005380: D1C80005 02212F2C
	v_add_u32_e32 v5, v5, v4                                   // 000000005388: 680A0905
	v_cmp_u_f32_e64 s[60:61], v44, v44                         // 00000000538C: D048003C 0002592C
	v_lshlrev_b32_e32 v44, 23, v5                              // 000000005394: 24580A97
	v_cndmask_b32_e64 v44, v44, v1, s[60:61]                   // 000000005398: D100002C 00F2032C
	s_mov_b32 s60, 0xffff                                      // 0000000053A0: BEBC00FF 0000FFFF
	v_cvt_scalef32_pk_fp4_f32 v64, v64, v65, v43               // 0000000053A8: D23D0040 04AE8340
	v_cvt_scalef32_pk_fp4_f32 v64, v66, v67, v43 op_sel:[0,0,1,0]// 0000000053B0: D23D2040 04AE8742
	v_cvt_scalef32_pk_fp4_f32 v68, v68, v69, v43               // 0000000053B8: D23D0044 04AE8B44
	v_cvt_scalef32_pk_fp4_f32 v68, v70, v71, v43 op_sel:[0,0,1,0]// 0000000053C0: D23D2044 04AE8F46
	s_nop 1                                                    // 0000000053C8: BF800001
	v_permlane16_swap_b32_e32 v64, v68                         // 0000000053CC: 7E80B344
	s_nop 1                                                    // 0000000053D0: BF800001
	v_and_b32_e64 v64, v64, s60                                // 0000000053D4: D1130040 00007940
	v_lshlrev_b32_e32 v68, 16, v68                             // 0000000053DC: 24888890
	v_or_b32_e32 v64, v64, v68                                 // 0000000053E0: 28808940
	v_mov_b32_e32 v68, v64                                     // 0000000053E4: 7E880340
	s_nop 1                                                    // 0000000053E8: BF800001
	v_permlane32_swap_b32_e32 v64, v68                         // 0000000053EC: 7E80B544
	s_nop 1                                                    // 0000000053F0: BF800001
	v_permlane16_swap_b32_e32 v64, v68                         // 0000000053F4: 7E80B344
	s_nop 1                                                    // 0000000053F8: BF800001
	v_permlane32_swap_b32_e32 v64, v68                         // 0000000053FC: 7E80B544
	s_nop 1                                                    // 000000005400: BF800001
	v_cvt_scalef32_pk_fp4_f32 v96, v96, v97, v44               // 000000005404: D23D0060 04B2C360
	v_cvt_scalef32_pk_fp4_f32 v96, v98, v99, v44 op_sel:[0,0,1,0]// 00000000540C: D23D2060 04B2C762
	v_cvt_scalef32_pk_fp4_f32 v100, v100, v101, v44            // 000000005414: D23D0064 04B2CB64
	v_cvt_scalef32_pk_fp4_f32 v100, v102, v103, v44 op_sel:[0,0,1,0]// 00000000541C: D23D2064 04B2CF66
	s_nop 1                                                    // 000000005424: BF800001
	v_permlane16_swap_b32_e32 v96, v100                        // 000000005428: 7EC0B364
	s_nop 1                                                    // 00000000542C: BF800001
	v_and_b32_e64 v96, v96, s60                                // 000000005430: D1130060 00007960
	v_lshlrev_b32_e32 v100, 16, v100                           // 000000005438: 24C8C890
	v_or_b32_e32 v96, v96, v100                                // 00000000543C: 28C0C960
	v_mov_b32_e32 v100, v96                                    // 000000005440: 7EC80360
	s_nop 1                                                    // 000000005444: BF800001
	v_permlane32_swap_b32_e32 v96, v100                        // 000000005448: 7EC0B564
	s_nop 1                                                    // 00000000544C: BF800001
	v_permlane16_swap_b32_e32 v96, v100                        // 000000005450: 7EC0B364
	s_nop 1                                                    // 000000005454: BF800001
	v_permlane32_swap_b32_e32 v96, v100                        // 000000005458: 7EC0B564
	s_nop 1                                                    // 00000000545C: BF800001
	v_mov_b32_e32 v45, 0x358637bd                              // 000000005460: 7E5A02FF 358637BD
	v_mov_b32_e32 v46, 0x358637bd                              // 000000005468: 7E5C02FF 358637BD
	v_max3_f32 v45, |v72|, |v73|, v45                          // 000000005470: D1D3032D 04B69348
	v_max3_f32 v45, |v74|, |v75|, v45                          // 000000005478: D1D3032D 04B6974A
	v_max3_f32 v45, |v76|, |v77|, v45                          // 000000005480: D1D3032D 04B69B4C
	v_max3_f32 v45, |v78|, |v79|, v45                          // 000000005488: D1D3032D 04B69F4E
	v_max3_f32 v46, |v104|, |v105|, v46                        // 000000005490: D1D3032E 04BAD368
	v_max3_f32 v46, |v106|, |v107|, v46                        // 000000005498: D1D3032E 04BAD76A
	v_max3_f32 v46, |v108|, |v109|, v46                        // 0000000054A0: D1D3032E 04BADB6C
	v_max3_f32 v46, |v110|, |v111|, v46                        // 0000000054A8: D1D3032E 04BADF6E
	v_mov_b32_e32 v2, v45                                      // 0000000054B0: 7E04032D
	s_nop 1                                                    // 0000000054B4: BF800001
	v_permlane32_swap_b32_e32 v2, v45                          // 0000000054B8: 7E04B52D
	v_max_f32_e32 v45, v2, v45                                 // 0000000054BC: 165A5B02
	v_mov_b32_e32 v2, v45                                      // 0000000054C0: 7E04032D
	s_nop 1                                                    // 0000000054C4: BF800001
	v_permlane16_swap_b32_e32 v2, v45                          // 0000000054C8: 7E04B32D
	v_max_f32_e32 v45, v2, v45                                 // 0000000054CC: 165A5B02
	v_mov_b32_e32 v2, v46                                      // 0000000054D0: 7E04032E
	s_nop 1                                                    // 0000000054D4: BF800001
	v_permlane32_swap_b32_e32 v2, v46                          // 0000000054D8: 7E04B52E
	v_max_f32_e32 v46, v2, v46                                 // 0000000054DC: 165C5D02
	v_mov_b32_e32 v2, v46                                      // 0000000054E0: 7E04032E
	s_nop 1                                                    // 0000000054E4: BF800001
	v_permlane16_swap_b32_e32 v2, v46                          // 0000000054E8: 7E04B32E
	v_max_f32_e32 v46, v2, v46                                 // 0000000054EC: 165C5D02
	v_mov_b32_e32 v2, 0x3e800000                               // 0000000054F0: 7E0402FF 3E800000
	v_mul_f32_e32 v45, v2, v45                                 // 0000000054F8: 0A5A5B02
	v_mul_f32_e32 v46, v2, v46                                 // 0000000054FC: 0A5C5D02
	v_mov_b32_e32 v1, 0x7fff0000                               // 000000005500: 7E0202FF 7FFF0000
	v_mov_b32_e32 v5, 0x7fbfffff                               // 000000005508: 7E0A02FF 7FBFFFFF
	v_bfe_u32 v2, v45, 22, 1                                   // 000000005510: D1C80002 02052D2D
	v_and_b32_e32 v3, v45, v5                                  // 000000005518: 26060B2D
	v_cmp_eq_u32_e64 s[60:61], v3, 0                           // 00000000551C: D0CA003C 00010103
	v_cndmask_b32_e64 v4, 1, 0, s[60:61]                       // 000000005524: D1000004 00F10081
	v_and_b32_e32 v4, v4, v2                                   // 00000000552C: 26080504
	v_bfe_u32 v5, v45, 23, 8                                   // 000000005530: D1C80005 02212F2D
	v_add_u32_e32 v5, v5, v4                                   // 000000005538: 680A0905
	v_cmp_u_f32_e64 s[60:61], v45, v45                         // 00000000553C: D048003C 00025B2D
	v_lshlrev_b32_e32 v45, 23, v5                              // 000000005544: 245A0A97
	v_cndmask_b32_e64 v45, v45, v1, s[60:61]                   // 000000005548: D100002D 00F2032D
	v_mov_b32_e32 v5, 0x7fbfffff                               // 000000005550: 7E0A02FF 7FBFFFFF
	v_bfe_u32 v2, v46, 22, 1                                   // 000000005558: D1C80002 02052D2E
	v_and_b32_e32 v3, v46, v5                                  // 000000005560: 26060B2E
	v_cmp_eq_u32_e64 s[60:61], v3, 0                           // 000000005564: D0CA003C 00010103
	v_cndmask_b32_e64 v4, 1, 0, s[60:61]                       // 00000000556C: D1000004 00F10081
	v_and_b32_e32 v4, v4, v2                                   // 000000005574: 26080504
	v_bfe_u32 v5, v46, 23, 8                                   // 000000005578: D1C80005 02212F2E
	v_add_u32_e32 v5, v5, v4                                   // 000000005580: 680A0905
	v_cmp_u_f32_e64 s[60:61], v46, v46                         // 000000005584: D048003C 00025D2E
	v_lshlrev_b32_e32 v46, 23, v5                              // 00000000558C: 245C0A97
	v_cndmask_b32_e64 v46, v46, v1, s[60:61]                   // 000000005590: D100002E 00F2032E
	s_mov_b32 s60, 0xffff                                      // 000000005598: BEBC00FF 0000FFFF
	v_cvt_scalef32_pk_fp4_f32 v72, v72, v73, v45               // 0000000055A0: D23D0048 04B69348
	v_cvt_scalef32_pk_fp4_f32 v72, v74, v75, v45 op_sel:[0,0,1,0]// 0000000055A8: D23D2048 04B6974A
	v_cvt_scalef32_pk_fp4_f32 v76, v76, v77, v45               // 0000000055B0: D23D004C 04B69B4C
	v_cvt_scalef32_pk_fp4_f32 v76, v78, v79, v45 op_sel:[0,0,1,0]// 0000000055B8: D23D204C 04B69F4E
	s_nop 1                                                    // 0000000055C0: BF800001
	v_permlane16_swap_b32_e32 v72, v76                         // 0000000055C4: 7E90B34C
	s_nop 1                                                    // 0000000055C8: BF800001
	v_and_b32_e64 v72, v72, s60                                // 0000000055CC: D1130048 00007948
	v_lshlrev_b32_e32 v76, 16, v76                             // 0000000055D4: 24989890
	v_or_b32_e32 v72, v72, v76                                 // 0000000055D8: 28909948
	v_mov_b32_e32 v76, v72                                     // 0000000055DC: 7E980348
	s_nop 1                                                    // 0000000055E0: BF800001
	v_permlane32_swap_b32_e32 v72, v76                         // 0000000055E4: 7E90B54C
	s_nop 1                                                    // 0000000055E8: BF800001
	v_permlane16_swap_b32_e32 v72, v76                         // 0000000055EC: 7E90B34C
	s_nop 1                                                    // 0000000055F0: BF800001
	v_permlane32_swap_b32_e32 v72, v76                         // 0000000055F4: 7E90B54C
	s_nop 1                                                    // 0000000055F8: BF800001
	v_cvt_scalef32_pk_fp4_f32 v104, v104, v105, v46            // 0000000055FC: D23D0068 04BAD368
	v_cvt_scalef32_pk_fp4_f32 v104, v106, v107, v46 op_sel:[0,0,1,0]// 000000005604: D23D2068 04BAD76A
	v_cvt_scalef32_pk_fp4_f32 v108, v108, v109, v46            // 00000000560C: D23D006C 04BADB6C
	v_cvt_scalef32_pk_fp4_f32 v108, v110, v111, v46 op_sel:[0,0,1,0]// 000000005614: D23D206C 04BADF6E
	s_nop 1                                                    // 00000000561C: BF800001
	v_permlane16_swap_b32_e32 v104, v108                       // 000000005620: 7ED0B36C
	s_nop 1                                                    // 000000005624: BF800001
	v_and_b32_e64 v104, v104, s60                              // 000000005628: D1130068 00007968
	v_lshlrev_b32_e32 v108, 16, v108                           // 000000005630: 24D8D890
	v_or_b32_e32 v104, v104, v108                              // 000000005634: 28D0D968
	v_mov_b32_e32 v108, v104                                   // 000000005638: 7ED80368
	s_nop 1                                                    // 00000000563C: BF800001
	v_permlane32_swap_b32_e32 v104, v108                       // 000000005640: 7ED0B56C
	s_nop 1                                                    // 000000005644: BF800001
	v_permlane16_swap_b32_e32 v104, v108                       // 000000005648: 7ED0B36C
	s_nop 1                                                    // 00000000564C: BF800001
	v_permlane32_swap_b32_e32 v104, v108                       // 000000005650: 7ED0B56C
	s_nop 1                                                    // 000000005654: BF800001
	v_mov_b32_e32 v47, 0x358637bd                              // 000000005658: 7E5E02FF 358637BD
	v_mov_b32_e32 v48, 0x358637bd                              // 000000005660: 7E6002FF 358637BD
	v_max3_f32 v47, |v80|, |v81|, v47                          // 000000005668: D1D3032F 04BEA350
	v_max3_f32 v47, |v82|, |v83|, v47                          // 000000005670: D1D3032F 04BEA752
	v_max3_f32 v47, |v84|, |v85|, v47                          // 000000005678: D1D3032F 04BEAB54
	v_max3_f32 v47, |v86|, |v87|, v47                          // 000000005680: D1D3032F 04BEAF56
	v_max3_f32 v48, |v112|, |v113|, v48                        // 000000005688: D1D30330 04C2E370
	v_max3_f32 v48, |v114|, |v115|, v48                        // 000000005690: D1D30330 04C2E772
	v_max3_f32 v48, |v116|, |v117|, v48                        // 000000005698: D1D30330 04C2EB74
	v_max3_f32 v48, |v118|, |v119|, v48                        // 0000000056A0: D1D30330 04C2EF76
	v_mov_b32_e32 v2, v47                                      // 0000000056A8: 7E04032F
	s_nop 1                                                    // 0000000056AC: BF800001
	v_permlane32_swap_b32_e32 v2, v47                          // 0000000056B0: 7E04B52F
	v_max_f32_e32 v47, v2, v47                                 // 0000000056B4: 165E5F02
	v_mov_b32_e32 v2, v47                                      // 0000000056B8: 7E04032F
	s_nop 1                                                    // 0000000056BC: BF800001
	v_permlane16_swap_b32_e32 v2, v47                          // 0000000056C0: 7E04B32F
	v_max_f32_e32 v47, v2, v47                                 // 0000000056C4: 165E5F02
	v_mov_b32_e32 v2, v48                                      // 0000000056C8: 7E040330
	s_nop 1                                                    // 0000000056CC: BF800001
	v_permlane32_swap_b32_e32 v2, v48                          // 0000000056D0: 7E04B530
	v_max_f32_e32 v48, v2, v48                                 // 0000000056D4: 16606102
	v_mov_b32_e32 v2, v48                                      // 0000000056D8: 7E040330
	s_nop 1                                                    // 0000000056DC: BF800001
	v_permlane16_swap_b32_e32 v2, v48                          // 0000000056E0: 7E04B330
	v_max_f32_e32 v48, v2, v48                                 // 0000000056E4: 16606102
	v_mov_b32_e32 v2, 0x3e800000                               // 0000000056E8: 7E0402FF 3E800000
	v_mul_f32_e32 v47, v2, v47                                 // 0000000056F0: 0A5E5F02
	v_mul_f32_e32 v48, v2, v48                                 // 0000000056F4: 0A606102
	v_mov_b32_e32 v1, 0x7fff0000                               // 0000000056F8: 7E0202FF 7FFF0000
	v_mov_b32_e32 v5, 0x7fbfffff                               // 000000005700: 7E0A02FF 7FBFFFFF
	v_bfe_u32 v2, v47, 22, 1                                   // 000000005708: D1C80002 02052D2F
	v_and_b32_e32 v3, v47, v5                                  // 000000005710: 26060B2F
	v_cmp_eq_u32_e64 s[60:61], v3, 0                           // 000000005714: D0CA003C 00010103
	v_cndmask_b32_e64 v4, 1, 0, s[60:61]                       // 00000000571C: D1000004 00F10081
	v_and_b32_e32 v4, v4, v2                                   // 000000005724: 26080504
	v_bfe_u32 v5, v47, 23, 8                                   // 000000005728: D1C80005 02212F2F
	v_add_u32_e32 v5, v5, v4                                   // 000000005730: 680A0905
	v_cmp_u_f32_e64 s[60:61], v47, v47                         // 000000005734: D048003C 00025F2F
	v_lshlrev_b32_e32 v47, 23, v5                              // 00000000573C: 245E0A97
	v_cndmask_b32_e64 v47, v47, v1, s[60:61]                   // 000000005740: D100002F 00F2032F
	v_mov_b32_e32 v5, 0x7fbfffff                               // 000000005748: 7E0A02FF 7FBFFFFF
	v_bfe_u32 v2, v48, 22, 1                                   // 000000005750: D1C80002 02052D30
	v_and_b32_e32 v3, v48, v5                                  // 000000005758: 26060B30
	v_cmp_eq_u32_e64 s[60:61], v3, 0                           // 00000000575C: D0CA003C 00010103
	v_cndmask_b32_e64 v4, 1, 0, s[60:61]                       // 000000005764: D1000004 00F10081
	v_and_b32_e32 v4, v4, v2                                   // 00000000576C: 26080504
	v_bfe_u32 v5, v48, 23, 8                                   // 000000005770: D1C80005 02212F30
	v_add_u32_e32 v5, v5, v4                                   // 000000005778: 680A0905
	v_cmp_u_f32_e64 s[60:61], v48, v48                         // 00000000577C: D048003C 00026130
	v_lshlrev_b32_e32 v48, 23, v5                              // 000000005784: 24600A97
	v_cndmask_b32_e64 v48, v48, v1, s[60:61]                   // 000000005788: D1000030 00F20330
	s_mov_b32 s60, 0xffff                                      // 000000005790: BEBC00FF 0000FFFF
	v_cvt_scalef32_pk_fp4_f32 v80, v80, v81, v47               // 000000005798: D23D0050 04BEA350
	v_cvt_scalef32_pk_fp4_f32 v80, v82, v83, v47 op_sel:[0,0,1,0]// 0000000057A0: D23D2050 04BEA752
	v_cvt_scalef32_pk_fp4_f32 v84, v84, v85, v47               // 0000000057A8: D23D0054 04BEAB54
	v_cvt_scalef32_pk_fp4_f32 v84, v86, v87, v47 op_sel:[0,0,1,0]// 0000000057B0: D23D2054 04BEAF56
	s_nop 1                                                    // 0000000057B8: BF800001
	v_permlane16_swap_b32_e32 v80, v84                         // 0000000057BC: 7EA0B354
	s_nop 1                                                    // 0000000057C0: BF800001
	v_and_b32_e64 v80, v80, s60                                // 0000000057C4: D1130050 00007950
	v_lshlrev_b32_e32 v84, 16, v84                             // 0000000057CC: 24A8A890
	v_or_b32_e32 v80, v80, v84                                 // 0000000057D0: 28A0A950
	v_mov_b32_e32 v84, v80                                     // 0000000057D4: 7EA80350
	s_nop 1                                                    // 0000000057D8: BF800001
	v_permlane32_swap_b32_e32 v80, v84                         // 0000000057DC: 7EA0B554
	s_nop 1                                                    // 0000000057E0: BF800001
	v_permlane16_swap_b32_e32 v80, v84                         // 0000000057E4: 7EA0B354
	s_nop 1                                                    // 0000000057E8: BF800001
	v_permlane32_swap_b32_e32 v80, v84                         // 0000000057EC: 7EA0B554
	s_nop 1                                                    // 0000000057F0: BF800001
	v_cvt_scalef32_pk_fp4_f32 v112, v112, v113, v48            // 0000000057F4: D23D0070 04C2E370
	v_cvt_scalef32_pk_fp4_f32 v112, v114, v115, v48 op_sel:[0,0,1,0]// 0000000057FC: D23D2070 04C2E772
	v_cvt_scalef32_pk_fp4_f32 v116, v116, v117, v48            // 000000005804: D23D0074 04C2EB74
	v_cvt_scalef32_pk_fp4_f32 v116, v118, v119, v48 op_sel:[0,0,1,0]// 00000000580C: D23D2074 04C2EF76
	s_nop 1                                                    // 000000005814: BF800001
	v_permlane16_swap_b32_e32 v112, v116                       // 000000005818: 7EE0B374
	s_nop 1                                                    // 00000000581C: BF800001
	v_and_b32_e64 v112, v112, s60                              // 000000005820: D1130070 00007970
	v_lshlrev_b32_e32 v116, 16, v116                           // 000000005828: 24E8E890
	v_or_b32_e32 v112, v112, v116                              // 00000000582C: 28E0E970
	v_mov_b32_e32 v116, v112                                   // 000000005830: 7EE80370
	s_nop 1                                                    // 000000005834: BF800001
	v_permlane32_swap_b32_e32 v112, v116                       // 000000005838: 7EE0B574
	s_nop 1                                                    // 00000000583C: BF800001
	v_permlane16_swap_b32_e32 v112, v116                       // 000000005840: 7EE0B374
	s_nop 1                                                    // 000000005844: BF800001
	v_permlane32_swap_b32_e32 v112, v116                       // 000000005848: 7EE0B574
	s_nop 1                                                    // 00000000584C: BF800001
	v_mov_b32_e32 v49, 0x358637bd                              // 000000005850: 7E6202FF 358637BD
	v_mov_b32_e32 v50, 0x358637bd                              // 000000005858: 7E6402FF 358637BD
	v_max3_f32 v49, |v88|, |v89|, v49                          // 000000005860: D1D30331 04C6B358
	v_max3_f32 v49, |v90|, |v91|, v49                          // 000000005868: D1D30331 04C6B75A
	v_max3_f32 v49, |v92|, |v93|, v49                          // 000000005870: D1D30331 04C6BB5C
	v_max3_f32 v49, |v94|, |v95|, v49                          // 000000005878: D1D30331 04C6BF5E
	v_max3_f32 v50, |v120|, |v121|, v50                        // 000000005880: D1D30332 04CAF378
	v_max3_f32 v50, |v122|, |v123|, v50                        // 000000005888: D1D30332 04CAF77A
	v_max3_f32 v50, |v124|, |v125|, v50                        // 000000005890: D1D30332 04CAFB7C
	v_max3_f32 v50, |v126|, |v127|, v50                        // 000000005898: D1D30332 04CAFF7E
	v_mov_b32_e32 v2, v49                                      // 0000000058A0: 7E040331
	s_nop 1                                                    // 0000000058A4: BF800001
	v_permlane32_swap_b32_e32 v2, v49                          // 0000000058A8: 7E04B531
	v_max_f32_e32 v49, v2, v49                                 // 0000000058AC: 16626302
	v_mov_b32_e32 v2, v49                                      // 0000000058B0: 7E040331
	s_nop 1                                                    // 0000000058B4: BF800001
	v_permlane16_swap_b32_e32 v2, v49                          // 0000000058B8: 7E04B331
	v_max_f32_e32 v49, v2, v49                                 // 0000000058BC: 16626302
	v_mov_b32_e32 v2, v50                                      // 0000000058C0: 7E040332
	s_nop 1                                                    // 0000000058C4: BF800001
	v_permlane32_swap_b32_e32 v2, v50                          // 0000000058C8: 7E04B532
	v_max_f32_e32 v50, v2, v50                                 // 0000000058CC: 16646502
	v_mov_b32_e32 v2, v50                                      // 0000000058D0: 7E040332
	s_nop 1                                                    // 0000000058D4: BF800001
	v_permlane16_swap_b32_e32 v2, v50                          // 0000000058D8: 7E04B332
	v_max_f32_e32 v50, v2, v50                                 // 0000000058DC: 16646502
	v_mov_b32_e32 v2, 0x3e800000                               // 0000000058E0: 7E0402FF 3E800000
	v_mul_f32_e32 v49, v2, v49                                 // 0000000058E8: 0A626302
	v_mul_f32_e32 v50, v2, v50                                 // 0000000058EC: 0A646502
	v_mov_b32_e32 v1, 0x7fff0000                               // 0000000058F0: 7E0202FF 7FFF0000
	v_mov_b32_e32 v5, 0x7fbfffff                               // 0000000058F8: 7E0A02FF 7FBFFFFF
	v_bfe_u32 v2, v49, 22, 1                                   // 000000005900: D1C80002 02052D31
	v_and_b32_e32 v3, v49, v5                                  // 000000005908: 26060B31
	v_cmp_eq_u32_e64 s[60:61], v3, 0                           // 00000000590C: D0CA003C 00010103
	v_cndmask_b32_e64 v4, 1, 0, s[60:61]                       // 000000005914: D1000004 00F10081
	v_and_b32_e32 v4, v4, v2                                   // 00000000591C: 26080504
	v_bfe_u32 v5, v49, 23, 8                                   // 000000005920: D1C80005 02212F31
	v_add_u32_e32 v5, v5, v4                                   // 000000005928: 680A0905
	v_cmp_u_f32_e64 s[60:61], v49, v49                         // 00000000592C: D048003C 00026331
	v_lshlrev_b32_e32 v49, 23, v5                              // 000000005934: 24620A97
	v_cndmask_b32_e64 v49, v49, v1, s[60:61]                   // 000000005938: D1000031 00F20331
	v_mov_b32_e32 v5, 0x7fbfffff                               // 000000005940: 7E0A02FF 7FBFFFFF
	v_bfe_u32 v2, v50, 22, 1                                   // 000000005948: D1C80002 02052D32
	v_and_b32_e32 v3, v50, v5                                  // 000000005950: 26060B32
	v_cmp_eq_u32_e64 s[60:61], v3, 0                           // 000000005954: D0CA003C 00010103
	v_cndmask_b32_e64 v4, 1, 0, s[60:61]                       // 00000000595C: D1000004 00F10081
	v_and_b32_e32 v4, v4, v2                                   // 000000005964: 26080504
	v_bfe_u32 v5, v50, 23, 8                                   // 000000005968: D1C80005 02212F32
	v_add_u32_e32 v5, v5, v4                                   // 000000005970: 680A0905
	v_cmp_u_f32_e64 s[60:61], v50, v50                         // 000000005974: D048003C 00026532
	v_lshlrev_b32_e32 v50, 23, v5                              // 00000000597C: 24640A97
	v_cndmask_b32_e64 v50, v50, v1, s[60:61]                   // 000000005980: D1000032 00F20332
	s_mov_b32 s60, 0xffff                                      // 000000005988: BEBC00FF 0000FFFF
	v_cvt_scalef32_pk_fp4_f32 v88, v88, v89, v49               // 000000005990: D23D0058 04C6B358
	v_cvt_scalef32_pk_fp4_f32 v88, v90, v91, v49 op_sel:[0,0,1,0]// 000000005998: D23D2058 04C6B75A
	v_cvt_scalef32_pk_fp4_f32 v92, v92, v93, v49               // 0000000059A0: D23D005C 04C6BB5C
	v_cvt_scalef32_pk_fp4_f32 v92, v94, v95, v49 op_sel:[0,0,1,0]// 0000000059A8: D23D205C 04C6BF5E
	s_nop 1                                                    // 0000000059B0: BF800001
	v_permlane16_swap_b32_e32 v88, v92                         // 0000000059B4: 7EB0B35C
	s_nop 1                                                    // 0000000059B8: BF800001
	v_and_b32_e64 v88, v88, s60                                // 0000000059BC: D1130058 00007958
	v_lshlrev_b32_e32 v92, 16, v92                             // 0000000059C4: 24B8B890
	v_or_b32_e32 v88, v88, v92                                 // 0000000059C8: 28B0B958
	v_mov_b32_e32 v92, v88                                     // 0000000059CC: 7EB80358
	s_nop 1                                                    // 0000000059D0: BF800001
	v_permlane32_swap_b32_e32 v88, v92                         // 0000000059D4: 7EB0B55C
	s_nop 1                                                    // 0000000059D8: BF800001
	v_permlane16_swap_b32_e32 v88, v92                         // 0000000059DC: 7EB0B35C
	s_nop 1                                                    // 0000000059E0: BF800001
	v_permlane32_swap_b32_e32 v88, v92                         // 0000000059E4: 7EB0B55C
	s_nop 1                                                    // 0000000059E8: BF800001
	v_cvt_scalef32_pk_fp4_f32 v120, v120, v121, v50            // 0000000059EC: D23D0078 04CAF378
	v_cvt_scalef32_pk_fp4_f32 v120, v122, v123, v50 op_sel:[0,0,1,0]// 0000000059F4: D23D2078 04CAF77A
	v_cvt_scalef32_pk_fp4_f32 v124, v124, v125, v50            // 0000000059FC: D23D007C 04CAFB7C
	v_cvt_scalef32_pk_fp4_f32 v124, v126, v127, v50 op_sel:[0,0,1,0]// 000000005A04: D23D207C 04CAFF7E
	s_nop 1                                                    // 000000005A0C: BF800001
	v_permlane16_swap_b32_e32 v120, v124                       // 000000005A10: 7EF0B37C
	s_nop 1                                                    // 000000005A14: BF800001
	v_and_b32_e64 v120, v120, s60                              // 000000005A18: D1130078 00007978
	v_lshlrev_b32_e32 v124, 16, v124                           // 000000005A20: 24F8F890
	v_or_b32_e32 v120, v120, v124                              // 000000005A24: 28F0F978
	v_mov_b32_e32 v124, v120                                   // 000000005A28: 7EF80378
	s_nop 1                                                    // 000000005A2C: BF800001
	v_permlane32_swap_b32_e32 v120, v124                       // 000000005A30: 7EF0B57C
	s_nop 1                                                    // 000000005A34: BF800001
	v_permlane16_swap_b32_e32 v120, v124                       // 000000005A38: 7EF0B37C
	s_nop 1                                                    // 000000005A3C: BF800001
	v_permlane32_swap_b32_e32 v120, v124                       // 000000005A40: 7EF0B57C
	s_nop 1                                                    // 000000005A44: BF800001
	v_lshrrev_b32_e32 v2, 5, v0                                // 000000005A48: 20040085
	v_lshlrev_b32_e32 v3, 6, v2                                // 000000005A4C: 24060486
	v_and_b32_e32 v2, 31, v0                                   // 000000005A50: 2604009F
	v_lshrrev_b32_e32 v4, 4, v2                                // 000000005A54: 20080484
	v_add_u32_e32 v3, v4, v3                                   // 000000005A58: 68060704
	v_and_b32_e32 v2, 15, v0                                   // 000000005A5C: 2604008F
	v_lshlrev_b32_e32 v2, 1, v2                                // 000000005A60: 24040481
	v_add_u32_e32 v3, v2, v3                                   // 000000005A64: 68060702
	v_lshlrev_b32_e32 v2, 2, v3                                // 000000005A68: 24040682
	s_mov_b32 s60, 0                                           // 000000005A6C: BEBC0080
	s_lshr_b32 s61, s7, 1                                      // 000000005A70: 8F3D8107
	s_mul_i32 s61, s61, 0x200                                  // 000000005A74: 923DFF3D 00000200
	s_add_u32 s60, s61, s60                                    // 000000005A7C: 803C3C3D
	s_and_b32 s61, s7, 1                                       // 000000005A80: 863D8107
	s_mul_i32 s61, s61, 0x80                                   // 000000005A84: 923DFF3D 00000080
	s_add_u32 s60, s61, s60                                    // 000000005A8C: 803C3C3D
	v_add_u32_e64 v2, v2, s60                                  // 000000005A90: D1340002 00007902
	ds_write_b32 v2, v64                                       // 000000005A98: D81A0000 00004002
	ds_write_b32 v2, v72 offset:1024                           // 000000005AA0: D81A0400 00004802
	ds_write_b32 v2, v80 offset:2048                           // 000000005AA8: D81A0800 00005002
	ds_write_b32 v2, v88 offset:3072                           // 000000005AB0: D81A0C00 00005802
	ds_write_b32 v2, v96 offset:4096                           // 000000005AB8: D81A1000 00006002
	ds_write_b32 v2, v104 offset:5120                          // 000000005AC0: D81A1400 00006802
	ds_write_b32 v2, v112 offset:6144                          // 000000005AC8: D81A1800 00007002
	ds_write_b32 v2, v120 offset:7168                          // 000000005AD0: D81A1C00 00007802
	s_waitcnt lgkmcnt(0)                                       // 000000005AD8: BF8CC07F
	s_barrier                                                  // 000000005ADC: BF8A0000
	v_and_b32_e32 v2, 31, v0                                   // 000000005AE0: 2604009F
	v_lshrrev_b32_e32 v2, 4, v2                                // 000000005AE4: 20040484
	v_lshlrev_b32_e32 v3, 5, v2                                // 000000005AE8: 24060485
	v_lshrrev_b32_e32 v2, 5, v0                                // 000000005AEC: 20040085
	v_lshlrev_b32_e32 v2, 7, v2                                // 000000005AF0: 24040487
	v_add_u32_e32 v3, v2, v3                                   // 000000005AF4: 68060702
	v_and_b32_e32 v2, 15, v0                                   // 000000005AF8: 2604008F
	v_lshlrev_b32_e32 v2, 1, v2                                // 000000005AFC: 24040481
	v_add_u32_e32 v3, v2, v3                                   // 000000005B00: 68060702
	v_lshlrev_b32_e32 v2, 2, v3                                // 000000005B04: 24040682
	ds_read_b64 v[64:65], v2                                   // 000000005B08: D8EC0000 40000002
	ds_read_b64 v[66:67], v2 offset:256                        // 000000005B10: D8EC0100 42000002
	ds_read_b64 v[68:69], v2 offset:1024                       // 000000005B18: D8EC0400 44000002
	ds_read_b64 v[70:71], v2 offset:1280                       // 000000005B20: D8EC0500 46000002
	ds_read_b64 v[72:73], v2 offset:2048                       // 000000005B28: D8EC0800 48000002
	ds_read_b64 v[74:75], v2 offset:2304                       // 000000005B30: D8EC0900 4A000002
	ds_read_b64 v[76:77], v2 offset:3072                       // 000000005B38: D8EC0C00 4C000002
	ds_read_b64 v[78:79], v2 offset:3328                       // 000000005B40: D8EC0D00 4E000002
	ds_read_b64 v[80:81], v2 offset:4096                       // 000000005B48: D8EC1000 50000002
	ds_read_b64 v[82:83], v2 offset:4352                       // 000000005B50: D8EC1100 52000002
	ds_read_b64 v[84:85], v2 offset:5120                       // 000000005B58: D8EC1400 54000002
	ds_read_b64 v[86:87], v2 offset:5376                       // 000000005B60: D8EC1500 56000002
	ds_read_b64 v[88:89], v2 offset:6144                       // 000000005B68: D8EC1800 58000002
	ds_read_b64 v[90:91], v2 offset:6400                       // 000000005B70: D8EC1900 5A000002
	ds_read_b64 v[92:93], v2 offset:7168                       // 000000005B78: D8EC1C00 5C000002
	ds_read_b64 v[94:95], v2 offset:7424                       // 000000005B80: D8EC1D00 5E000002
	s_waitcnt lgkmcnt(0)                                       // 000000005B88: BF8CC07F
	s_barrier                                                  // 000000005B8C: BF8A0000
	v_lshrrev_b32_e32 v2, 5, v0                                // 000000005B90: 20040085
	v_lshlrev_b32_e32 v3, 6, v2                                // 000000005B94: 24060486
	v_and_b32_e32 v2, 31, v0                                   // 000000005B98: 2604009F
	v_lshrrev_b32_e32 v4, 4, v2                                // 000000005B9C: 20080484
	v_add_u32_e32 v3, v4, v3                                   // 000000005BA0: 68060704
	v_and_b32_e32 v2, 15, v0                                   // 000000005BA4: 2604008F
	v_lshlrev_b32_e32 v2, 1, v2                                // 000000005BA8: 24040481
	v_add_u32_e32 v3, v2, v3                                   // 000000005BAC: 68060702
	v_lshlrev_b32_e32 v2, 2, v3                                // 000000005BB0: 24040682
	s_mov_b32 s60, 0                                           // 000000005BB4: BEBC0080
	s_lshr_b32 s61, s7, 1                                      // 000000005BB8: 8F3D8107
	s_mul_i32 s61, s61, 0x200                                  // 000000005BBC: 923DFF3D 00000200
	s_add_u32 s60, s61, s60                                    // 000000005BC4: 803C3C3D
	s_and_b32 s61, s7, 1                                       // 000000005BC8: 863D8107
	s_mul_i32 s61, s61, 0x80                                   // 000000005BCC: 923DFF3D 00000080
	s_add_u32 s60, s61, s60                                    // 000000005BD4: 803C3C3D
	v_add_u32_e64 v2, v2, s60                                  // 000000005BD8: D1340002 00007902
	ds_write_b32 v2, v43                                       // 000000005BE0: D81A0000 00002B02
	ds_write_b32 v2, v45 offset:1024                           // 000000005BE8: D81A0400 00002D02
	ds_write_b32 v2, v47 offset:2048                           // 000000005BF0: D81A0800 00002F02
	ds_write_b32 v2, v49 offset:3072                           // 000000005BF8: D81A0C00 00003102
	ds_write_b32 v2, v44 offset:4096                           // 000000005C00: D81A1000 00002C02
	ds_write_b32 v2, v46 offset:5120                           // 000000005C08: D81A1400 00002E02
	ds_write_b32 v2, v48 offset:6144                           // 000000005C10: D81A1800 00003002
	ds_write_b32 v2, v50 offset:7168                           // 000000005C18: D81A1C00 00003202
	s_waitcnt lgkmcnt(0)                                       // 000000005C20: BF8CC07F
	s_barrier                                                  // 000000005C24: BF8A0000
	v_and_b32_e32 v2, 31, v0                                   // 000000005C28: 2604009F
	v_lshrrev_b32_e32 v2, 4, v2                                // 000000005C2C: 20040484
	v_lshlrev_b32_e32 v3, 5, v2                                // 000000005C30: 24060485
	v_lshrrev_b32_e32 v2, 5, v0                                // 000000005C34: 20040085
	v_lshlrev_b32_e32 v2, 7, v2                                // 000000005C38: 24040487
	v_add_u32_e32 v3, v2, v3                                   // 000000005C3C: 68060702
	v_and_b32_e32 v2, 15, v0                                   // 000000005C40: 2604008F
	v_lshlrev_b32_e32 v2, 1, v2                                // 000000005C44: 24040481
	v_add_u32_e32 v3, v2, v3                                   // 000000005C48: 68060702
	v_lshlrev_b32_e32 v2, 2, v3                                // 000000005C4C: 24040682
	ds_read_b32 v43, v2                                        // 000000005C50: D86C0000 2B000002
	ds_read_b32 v45, v2 offset:1024                            // 000000005C58: D86C0400 2D000002
	ds_read_b32 v47, v2 offset:2048                            // 000000005C60: D86C0800 2F000002
	ds_read_b32 v49, v2 offset:3072                            // 000000005C68: D86C0C00 31000002
	ds_read_b32 v44, v2 offset:4096                            // 000000005C70: D86C1000 2C000002
	ds_read_b32 v46, v2 offset:5120                            // 000000005C78: D86C1400 2E000002
	ds_read_b32 v48, v2 offset:6144                            // 000000005C80: D86C1800 30000002
	ds_read_b32 v50, v2 offset:7168                            // 000000005C88: D86C1C00 32000002
	s_waitcnt lgkmcnt(0)                                       // 000000005C90: BF8CC07F
	s_barrier                                                  // 000000005C94: BF8A0000
	v_bfe_u32 v43, v43, 23, 8                                  // 000000005C98: D1C8002B 02212F2B
	v_bfe_u32 v44, v44, 23, 8                                  // 000000005CA0: D1C8002C 02212F2C
	v_bfe_u32 v45, v45, 23, 8                                  // 000000005CA8: D1C8002D 02212F2D
	v_bfe_u32 v46, v46, 23, 8                                  // 000000005CB0: D1C8002E 02212F2E
	v_bfe_u32 v47, v47, 23, 8                                  // 000000005CB8: D1C8002F 02212F2F
	v_bfe_u32 v48, v48, 23, 8                                  // 000000005CC0: D1C80030 02212F30
	v_bfe_u32 v49, v49, 23, 8                                  // 000000005CC8: D1C80031 02212F31
	v_bfe_u32 v50, v50, 23, 8                                  // 000000005CD0: D1C80032 02212F32
	v_mov_b32_e32 v2, 0                                        // 000000005CD8: 7E040280
	v_lshlrev_b32_e32 v43, 0, v43                              // 000000005CDC: 24565680
	v_or_b32_e32 v2, v2, v43                                   // 000000005CE0: 28045702
	v_lshlrev_b32_e32 v44, 8, v44                              // 000000005CE4: 24585888
	v_or_b32_e32 v2, v2, v44                                   // 000000005CE8: 28045902
	v_lshlrev_b32_e32 v45, 16, v45                             // 000000005CEC: 245A5A90
	v_or_b32_e32 v2, v2, v45                                   // 000000005CF0: 28045B02
	v_lshlrev_b32_e32 v46, 24, v46                             // 000000005CF4: 245C5C98
	v_or_b32_e32 v2, v2, v46                                   // 000000005CF8: 28045D02
	v_mov_b32_e32 v43, v2                                      // 000000005CFC: 7E560302
	v_mov_b32_e32 v2, 0                                        // 000000005D00: 7E040280
	v_lshlrev_b32_e32 v47, 0, v47                              // 000000005D04: 245E5E80
	v_or_b32_e32 v2, v2, v47                                   // 000000005D08: 28045F02
	v_lshlrev_b32_e32 v48, 8, v48                              // 000000005D0C: 24606088
	v_or_b32_e32 v2, v2, v48                                   // 000000005D10: 28046102
	v_lshlrev_b32_e32 v49, 16, v49                             // 000000005D14: 24626290
	v_or_b32_e32 v2, v2, v49                                   // 000000005D18: 28046302
	v_lshlrev_b32_e32 v50, 24, v50                             // 000000005D1C: 24646498
	v_or_b32_e32 v2, v2, v50                                   // 000000005D20: 28046502
	v_mov_b32_e32 v44, v2                                      // 000000005D24: 7E580302
	s_add_u32 s12, s56, s12                                    // 000000005D28: 800C0C38
	s_addc_u32 s13, 0, s13                                     // 000000005D2C: 820D0D80
	s_add_u32 s16, s79, s16                                    // 000000005D30: 8010104F
	s_addc_u32 s17, 0, s17                                     // 000000005D34: 82111180
	s_waitcnt lgkmcnt(0)                                       // 000000005D38: BF8CC07F
	s_barrier                                                  // 000000005D3C: BF8A0000
	v_mov_b32_e32 v160, 0                                      // 000000005D40: 7F400280
	v_mov_b32_e32 v192, 0                                      // 000000005D44: 7F800280
	v_mov_b32_e32 v161, 0                                      // 000000005D48: 7F420280
	v_mov_b32_e32 v193, 0                                      // 000000005D4C: 7F820280
	v_mov_b32_e32 v162, 0                                      // 000000005D50: 7F440280
	v_mov_b32_e32 v194, 0                                      // 000000005D54: 7F840280
	v_mov_b32_e32 v163, 0                                      // 000000005D58: 7F460280
	v_mov_b32_e32 v195, 0                                      // 000000005D5C: 7F860280
	v_mov_b32_e32 v164, 0                                      // 000000005D60: 7F480280
	v_mov_b32_e32 v196, 0                                      // 000000005D64: 7F880280
	v_mov_b32_e32 v165, 0                                      // 000000005D68: 7F4A0280
	v_mov_b32_e32 v197, 0                                      // 000000005D6C: 7F8A0280
	v_mov_b32_e32 v166, 0                                      // 000000005D70: 7F4C0280
	v_mov_b32_e32 v198, 0                                      // 000000005D74: 7F8C0280
	v_mov_b32_e32 v167, 0                                      // 000000005D78: 7F4E0280
	v_mov_b32_e32 v199, 0                                      // 000000005D7C: 7F8E0280
	v_mov_b32_e32 v168, 0                                      // 000000005D80: 7F500280
	v_mov_b32_e32 v200, 0                                      // 000000005D84: 7F900280
	v_mov_b32_e32 v169, 0                                      // 000000005D88: 7F520280
	v_mov_b32_e32 v201, 0                                      // 000000005D8C: 7F920280
	v_mov_b32_e32 v170, 0                                      // 000000005D90: 7F540280
	v_mov_b32_e32 v202, 0                                      // 000000005D94: 7F940280
	v_mov_b32_e32 v171, 0                                      // 000000005D98: 7F560280
	v_mov_b32_e32 v203, 0                                      // 000000005D9C: 7F960280
	v_mov_b32_e32 v172, 0                                      // 000000005DA0: 7F580280
	v_mov_b32_e32 v204, 0                                      // 000000005DA4: 7F980280
	v_mov_b32_e32 v173, 0                                      // 000000005DA8: 7F5A0280
	v_mov_b32_e32 v205, 0                                      // 000000005DAC: 7F9A0280
	v_mov_b32_e32 v174, 0                                      // 000000005DB0: 7F5C0280
	v_mov_b32_e32 v206, 0                                      // 000000005DB4: 7F9C0280
	v_mov_b32_e32 v175, 0                                      // 000000005DB8: 7F5E0280
	v_mov_b32_e32 v207, 0                                      // 000000005DBC: 7F9E0280
	ds_write_b64 v8, v[160:161]                                // 000000005DC0: D89A0000 0000A008
	ds_write_b64 v8, v[162:163] offset:8704                    // 000000005DC8: D89A2200 0000A208
	ds_write_b64 v8, v[164:165] offset:544                     // 000000005DD0: D89A0220 0000A408
	ds_write_b64 v8, v[166:167] offset:9248                    // 000000005DD8: D89A2420 0000A608
	ds_write_b64 v8, v[168:169] offset:4352                    // 000000005DE0: D89A1100 0000A808
	ds_write_b64 v8, v[170:171] offset:13056                   // 000000005DE8: D89A3300 0000AA08
	ds_write_b64 v8, v[172:173] offset:4896                    // 000000005DF0: D89A1320 0000AC08
	ds_write_b64 v8, v[174:175] offset:13600                   // 000000005DF8: D89A3520 0000AE08
	s_mov_b32 s80, 0                                           // 000000005E00: BED00080
	s_waitcnt vmcnt(0) expcnt(0) lgkmcnt(0)                    // 000000005E04: BF8C0000

0000000000005e08 <label_0C02>:
	s_waitcnt vmcnt(14) lgkmcnt(0)                             // 000000005E08: BF8C007E
	s_barrier                                                  // 000000005E0C: BF8A0000
	v_mfma_scale_f32_16x16x128_f8f6f4 v[160:163], a[0:3], v[64:67], 0, v25, v43 op_sel_hi:[0,0,0] cbsz:4 blgp:4// 000000005E10: D3AC6000 00025719 D3AD0CA0 8A028100
	ds_read_b32 v128, v9                                       // 000000005E20: D86C0000 80000009
	ds_read_b32 v129, v9 offset:4352                           // 000000005E28: D86C1100 81000009
	ds_read_b32 v130, v9 offset:8                              // 000000005E30: D86C0008 82000009
	ds_read_b32 v131, v9 offset:4360                           // 000000005E38: D86C1108 83000009
	v_mfma_scale_f32_16x16x128_f8f6f4 v[164:167], a[0:3], v[80:83], 0, v25, v43 op_sel_hi:[0,0,0] cbsz:4 blgp:4// 000000005E40: D3AC7000 00025719 D3AD0CA4 8A02A100
	buffer_load_dwordx4 a[64:67], v60, s[12:15], 0 offen       // 000000005E50: E05C1000 8083403C
	v_mfma_scale_f32_16x16x128_f8f6f4 v[168:171], a[4:7], v[64:67], 0, v25, v43 op_sel_hi:[0,0,0] cbsz:4 blgp:4// 000000005E58: D3AC6800 00025719 D3AD0CA8 8A028104
	ds_read_b32 v132, v9 offset:32                             // 000000005E68: D86C0020 84000009
	ds_read_b32 v133, v9 offset:4384                           // 000000005E70: D86C1120 85000009
	ds_read_b32 v134, v9 offset:40                             // 000000005E78: D86C0028 86000009
	ds_read_b32 v135, v9 offset:4392                           // 000000005E80: D86C1128 87000009
	v_mfma_scale_f32_16x16x128_f8f6f4 v[172:175], a[4:7], v[80:83], 0, v25, v43 op_sel_hi:[0,0,0] cbsz:4 blgp:4// 000000005E88: D3AC7800 00025719 D3AD0CAC 8A02A104
	buffer_load_dwordx4 a[68:71], v61, s[12:15], 0 offen       // 000000005E98: E05C1000 8083443D
	buffer_load_dword v29, v10, s[16:19], 0 offen              // 000000005EA0: E0501000 80041D0A
	buffer_load_dword v30, v11, s[16:19], 0 offen              // 000000005EA8: E0501000 80041E0B
	buffer_load_dword v31, v10, s[16:19], 0 offen offset:256   // 000000005EB0: E0501100 80041F0A
	buffer_load_dword v32, v11, s[16:19], 0 offen offset:256   // 000000005EB8: E0501100 8004200B
	s_waitcnt vmcnt(18)                                        // 000000005EC0: BF8C4F72
	v_mfma_scale_f32_16x16x128_f8f6f4 v[176:179], a[8:11], v[64:67], 0, v26, v43 op_sel_hi:[0,0,0] cbsz:4 blgp:4// 000000005EC4: D3AC6000 0002571A D3AD0CB0 8A028108
	ds_read_b32 v136, v9 offset:8704                           // 000000005ED4: D86C2200 88000009
	ds_read_b32 v137, v9 offset:13056                          // 000000005EDC: D86C3300 89000009
	ds_read_b32 v138, v9 offset:8712                           // 000000005EE4: D86C2208 8A000009
	ds_read_b32 v139, v9 offset:13064                          // 000000005EEC: D86C3308 8B000009
	v_mfma_scale_f32_16x16x128_f8f6f4 v[180:183], a[8:11], v[80:83], 0, v26, v43 op_sel_hi:[0,0,0] cbsz:4 blgp:4// 000000005EF4: D3AC7000 0002571A D3AD0CB4 8A02A108
	buffer_load_dwordx4 a[72:75], v62, s[12:15], 0 offen       // 000000005F04: E05C1000 8083483E
	v_mfma_scale_f32_16x16x128_f8f6f4 v[184:187], a[12:15], v[64:67], 0, v26, v43 op_sel_hi:[0,0,0] cbsz:4 blgp:4// 000000005F0C: D3AC6800 0002571A D3AD0CB8 8A02810C
	ds_read_b32 v140, v9 offset:8736                           // 000000005F1C: D86C2220 8C000009
	ds_read_b32 v141, v9 offset:13088                          // 000000005F24: D86C3320 8D000009
	ds_read_b32 v142, v9 offset:8744                           // 000000005F2C: D86C2228 8E000009
	ds_read_b32 v143, v9 offset:13096                          // 000000005F34: D86C3328 8F000009
	v_mfma_scale_f32_16x16x128_f8f6f4 v[188:191], a[12:15], v[80:83], 0, v26, v43 op_sel_hi:[0,0,0] cbsz:4 blgp:4// 000000005F3C: D3AC7800 0002571A D3AD0CBC 8A02A10C
	buffer_load_dwordx4 a[76:79], v63, s[12:15], 0 offen       // 000000005F4C: E05C1000 80834C3F
	buffer_load_dword v31, v10, s[16:19], 0 offen offset:256   // 000000005F54: E0501100 80041F0A
	buffer_load_dword v32, v11, s[16:19], 0 offen offset:256   // 000000005F5C: E0501100 8004200B
	s_waitcnt vmcnt(18)                                        // 000000005F64: BF8C4F72
	v_mfma_scale_f32_16x16x128_f8f6f4 v[160:163], a[16:19], v[68:71], v[160:163], v25, v43 op_sel_hi:[0,0,0] cbsz:4 blgp:4// 000000005F68: D3AC6000 18025719 D3AD0CA0 8E828910
	ds_write_b64 v8, v[192:193] offset:17408                   // 000000005F78: D89A4400 0000C008
	ds_write_b64 v8, v[194:195] offset:26112                   // 000000005F80: D89A6600 0000C208
	v_mfma_scale_f32_16x16x128_f8f6f4 v[164:167], a[16:19], v[84:87], v[164:167], v25, v43 op_sel_hi:[0,0,0] cbsz:4 blgp:4// 000000005F88: D3AC7000 18025719 D3AD0CA4 8E92A910
	buffer_load_dwordx4 a[80:83], v60, s[12:15], 0 offen offset:1024// 000000005F98: E05C1400 8083503C
	v_mfma_scale_f32_16x16x128_f8f6f4 v[168:171], a[20:23], v[68:71], v[168:171], v25, v43 op_sel_hi:[0,0,0] cbsz:4 blgp:4// 000000005FA0: D3AC6800 18025719 D3AD0CA8 8EA28914
	ds_write_b64 v8, v[196:197] offset:17952                   // 000000005FB0: D89A4620 0000C408
	ds_write_b64 v8, v[198:199] offset:26656                   // 000000005FB8: D89A6820 0000C608
	v_mfma_scale_f32_16x16x128_f8f6f4 v[172:175], a[20:23], v[84:87], v[172:175], v25, v43 op_sel_hi:[0,0,0] cbsz:4 blgp:4// 000000005FC0: D3AC7800 18025719 D3AD0CAC 8EB2A914
	buffer_load_dwordx4 a[84:87], v61, s[12:15], 0 offen offset:1024// 000000005FD0: E05C1400 8083543D
	s_waitcnt vmcnt(18)                                        // 000000005FD8: BF8C4F72
	v_mfma_scale_f32_16x16x128_f8f6f4 v[176:179], a[24:27], v[68:71], v[176:179], v26, v43 op_sel_hi:[0,0,0] cbsz:4 blgp:4// 000000005FDC: D3AC6000 1802571A D3AD0CB0 8EC28918
	ds_write_b64 v8, v[200:201] offset:21760                   // 000000005FEC: D89A5500 0000C808
	ds_write_b64 v8, v[202:203] offset:30464                   // 000000005FF4: D89A7700 0000CA08
	v_mfma_scale_f32_16x16x128_f8f6f4 v[180:183], a[24:27], v[84:87], v[180:183], v26, v43 op_sel_hi:[0,0,0] cbsz:4 blgp:4// 000000005FFC: D3AC7000 1802571A D3AD0CB4 8ED2A918
	buffer_load_dwordx4 a[88:91], v62, s[12:15], 0 offen offset:1024// 00000000600C: E05C1400 8083583E
	v_mfma_scale_f32_16x16x128_f8f6f4 v[184:187], a[28:31], v[68:71], v[184:187], v26, v43 op_sel_hi:[0,0,0] cbsz:4 blgp:4// 000000006014: D3AC6800 1802571A D3AD0CB8 8EE2891C
	ds_write_b64 v8, v[204:205] offset:22304                   // 000000006024: D89A5720 0000CC08
	ds_write_b64 v8, v[206:207] offset:31008                   // 00000000602C: D89A7920 0000CE08
	v_mfma_scale_f32_16x16x128_f8f6f4 v[188:191], a[28:31], v[84:87], v[188:191], v26, v43 op_sel_hi:[0,0,0] cbsz:4 blgp:4// 000000006034: D3AC7800 1802571A D3AD0CBC 8EF2A91C
	buffer_load_dwordx4 a[92:95], v63, s[12:15], 0 offen offset:1024// 000000006044: E05C1400 80835C3F
	s_waitcnt vmcnt(18)                                        // 00000000604C: BF8C4F72
	v_mfma_scale_f32_16x16x128_f8f6f4 v[160:163], a[32:35], v[72:75], v[160:163], v27, v44 op_sel_hi:[0,0,0] cbsz:4 blgp:4// 000000006050: D3AC6000 0002591B D3AD0CA0 8E829120
	v_mfma_scale_f32_16x16x128_f8f6f4 v[164:167], a[32:35], v[88:91], v[164:167], v27, v44 op_sel_hi:[0,0,0] cbsz:4 blgp:4// 000000006060: D3AC7000 0002591B D3AD0CA4 8E92B120
	buffer_load_dwordx4 a[96:99], v60, s[12:15], 0 offen offset:2048// 000000006070: E05C1800 8083603C
	v_mfma_scale_f32_16x16x128_f8f6f4 v[168:171], a[36:39], v[72:75], v[168:171], v27, v44 op_sel_hi:[0,0,0] cbsz:4 blgp:4// 000000006078: D3AC6800 0002591B D3AD0CA8 8EA29124
	v_mfma_scale_f32_16x16x128_f8f6f4 v[172:175], a[36:39], v[88:91], v[172:175], v27, v44 op_sel_hi:[0,0,0] cbsz:4 blgp:4// 000000006088: D3AC7800 0002591B D3AD0CAC 8EB2B124
	buffer_load_dwordx4 a[100:103], v61, s[12:15], 0 offen offset:2048// 000000006098: E05C1800 8083643D
	s_waitcnt vmcnt(18)                                        // 0000000060A0: BF8C4F72
	v_mfma_scale_f32_16x16x128_f8f6f4 v[176:179], a[40:43], v[72:75], v[176:179], v28, v44 op_sel_hi:[0,0,0] cbsz:4 blgp:4// 0000000060A4: D3AC6000 0002591C D3AD0CB0 8EC29128
	v_mfma_scale_f32_16x16x128_f8f6f4 v[180:183], a[40:43], v[88:91], v[180:183], v28, v44 op_sel_hi:[0,0,0] cbsz:4 blgp:4// 0000000060B4: D3AC7000 0002591C D3AD0CB4 8ED2B128
	buffer_load_dwordx4 a[104:107], v62, s[12:15], 0 offen offset:2048// 0000000060C4: E05C1800 8083683E
	v_mfma_scale_f32_16x16x128_f8f6f4 v[184:187], a[44:47], v[72:75], v[184:187], v28, v44 op_sel_hi:[0,0,0] cbsz:4 blgp:4// 0000000060CC: D3AC6800 0002591C D3AD0CB8 8EE2912C
	v_mfma_scale_f32_16x16x128_f8f6f4 v[188:191], a[44:47], v[88:91], v[188:191], v28, v44 op_sel_hi:[0,0,0] cbsz:4 blgp:4// 0000000060DC: D3AC7800 0002591C D3AD0CBC 8EF2B12C
	buffer_load_dwordx4 a[108:111], v63, s[12:15], 0 offen offset:2048// 0000000060EC: E05C1800 80836C3F
	s_waitcnt vmcnt(18)                                        // 0000000060F4: BF8C4F72
	v_mfma_scale_f32_16x16x128_f8f6f4 v[160:163], a[48:51], v[76:79], v[160:163], v27, v44 op_sel_hi:[0,0,0] cbsz:4 blgp:4// 0000000060F8: D3AC6000 1802591B D3AD0CA0 8E829930
	v_mfma_scale_f32_16x16x128_f8f6f4 v[164:167], a[48:51], v[92:95], v[164:167], v27, v44 op_sel_hi:[0,0,0] cbsz:4 blgp:4// 000000006108: D3AC7000 1802591B D3AD0CA4 8E92B930
	buffer_load_dwordx4 a[112:115], v60, s[12:15], 0 offen offset:3072// 000000006118: E05C1C00 8083703C
	v_mfma_scale_f32_16x16x128_f8f6f4 v[168:171], a[52:55], v[76:79], v[168:171], v27, v44 op_sel_hi:[0,0,0] cbsz:4 blgp:4// 000000006120: D3AC6800 1802591B D3AD0CA8 8EA29934
	v_mfma_scale_f32_16x16x128_f8f6f4 v[172:175], a[52:55], v[92:95], v[172:175], v27, v44 op_sel_hi:[0,0,0] cbsz:4 blgp:4// 000000006130: D3AC7800 1802591B D3AD0CAC 8EB2B934
	buffer_load_dwordx4 a[116:119], v61, s[12:15], 0 offen offset:3072// 000000006140: E05C1C00 8083743D
	s_waitcnt vmcnt(18)                                        // 000000006148: BF8C4F72
	v_mfma_scale_f32_16x16x128_f8f6f4 v[176:179], a[56:59], v[76:79], v[176:179], v28, v44 op_sel_hi:[0,0,0] cbsz:4 blgp:4// 00000000614C: D3AC6000 1802591C D3AD0CB0 8EC29938
	v_mfma_scale_f32_16x16x128_f8f6f4 v[180:183], a[56:59], v[92:95], v[180:183], v28, v44 op_sel_hi:[0,0,0] cbsz:4 blgp:4// 00000000615C: D3AC7000 1802591C D3AD0CB4 8ED2B938
	buffer_load_dwordx4 a[120:123], v62, s[12:15], 0 offen offset:3072// 00000000616C: E05C1C00 8083783E
	v_mfma_scale_f32_16x16x128_f8f6f4 v[184:187], a[60:63], v[76:79], v[184:187], v28, v44 op_sel_hi:[0,0,0] cbsz:4 blgp:4// 000000006174: D3AC6800 1802591C D3AD0CB8 8EE2993C
	v_mfma_scale_f32_16x16x128_f8f6f4 v[188:191], a[60:63], v[92:95], v[188:191], v28, v44 op_sel_hi:[0,0,0] cbsz:4 blgp:4// 000000006184: D3AC7800 1802591C D3AD0CBC 8EF2B93C
	buffer_load_dwordx4 a[124:127], v63, s[12:15], 0 offen offset:3072// 000000006194: E05C1C00 80837C3F
	s_add_u32 s60, 0x200, s80                                  // 00000000619C: 803C50FF 00000200
	s_cmp_lt_u32 s60, s81                                      // 0000000061A4: BF0A513C
	s_cselect_b32 s56, s56, 0                                  // 0000000061A8: 85388038
	s_cselect_b32 s78, s78, 0                                  // 0000000061AC: 854E804E
	s_cselect_b32 s79, s79, 0                                  // 0000000061B0: 854F804F
	s_add_u32 s12, s56, s12                                    // 0000000061B4: 800C0C38
	s_addc_u32 s13, 0, s13                                     // 0000000061B8: 820D0D80
	s_add_u32 s16, s79, s16                                    // 0000000061BC: 8010104F
	s_addc_u32 s17, 0, s17                                     // 0000000061C0: 82111180
	v_mov_b32_e32 v2, v41                                      // 0000000061C4: 7E040329
	v_mov_b32_e32 v3, v41                                      // 0000000061C8: 7E060329
	v_pk_mul_f32 v[160:161], v[2:3], v[160:161]                // 0000000061CC: D3B140A0 18034102
	v_pk_mul_f32 v[162:163], v[2:3], v[162:163]                // 0000000061D4: D3B140A2 18034502
	v_pk_mul_f32 v[168:169], v[2:3], v[168:169]                // 0000000061DC: D3B140A8 18035102
	v_pk_mul_f32 v[170:171], v[2:3], v[170:171]                // 0000000061E4: D3B140AA 18035502
	v_pk_mul_f32 v[176:177], v[2:3], v[176:177]                // 0000000061EC: D3B140B0 18036102
	v_pk_mul_f32 v[178:179], v[2:3], v[178:179]                // 0000000061F4: D3B140B2 18036502
	v_pk_mul_f32 v[184:185], v[2:3], v[184:185]                // 0000000061FC: D3B140B8 18037102
	v_pk_mul_f32 v[186:187], v[2:3], v[186:187]                // 000000006204: D3B140BA 18037502
	v_mov_b32_e32 v2, v42                                      // 00000000620C: 7E04032A
	v_mov_b32_e32 v3, v42                                      // 000000006210: 7E06032A
	v_pk_mul_f32 v[164:165], v[2:3], v[164:165]                // 000000006214: D3B140A4 18034902
	v_pk_mul_f32 v[166:167], v[2:3], v[166:167]                // 00000000621C: D3B140A6 18034D02
	v_pk_mul_f32 v[172:173], v[2:3], v[172:173]                // 000000006224: D3B140AC 18035902
	v_pk_mul_f32 v[174:175], v[2:3], v[174:175]                // 00000000622C: D3B140AE 18035D02
	v_pk_mul_f32 v[180:181], v[2:3], v[180:181]                // 000000006234: D3B140B4 18036902
	v_pk_mul_f32 v[182:183], v[2:3], v[182:183]                // 00000000623C: D3B140B6 18036D02
	v_pk_mul_f32 v[188:189], v[2:3], v[188:189]                // 000000006244: D3B140BC 18037902
	v_pk_mul_f32 v[190:191], v[2:3], v[190:191]                // 00000000624C: D3B140BE 18037D02
	v_cvt_pk_bf16_f32 v160, v160, v161                         // 000000006254: D26800A0 000343A0
	v_cvt_pk_bf16_f32 v161, v162, v163                         // 00000000625C: D26800A1 000347A2
	v_cvt_pk_bf16_f32 v162, v164, v165                         // 000000006264: D26800A2 00034BA4
	v_cvt_pk_bf16_f32 v163, v166, v167                         // 00000000626C: D26800A3 00034FA6
	v_cvt_pk_bf16_f32 v164, v168, v169                         // 000000006274: D26800A4 000353A8
	v_cvt_pk_bf16_f32 v165, v170, v171                         // 00000000627C: D26800A5 000357AA
	v_cvt_pk_bf16_f32 v166, v172, v173                         // 000000006284: D26800A6 00035BAC
	v_cvt_pk_bf16_f32 v167, v174, v175                         // 00000000628C: D26800A7 00035FAE
	v_cvt_pk_bf16_f32 v168, v176, v177                         // 000000006294: D26800A8 000363B0
	v_cvt_pk_bf16_f32 v169, v178, v179                         // 00000000629C: D26800A9 000367B2
	v_cvt_pk_bf16_f32 v170, v180, v181                         // 0000000062A4: D26800AA 00036BB4
	v_cvt_pk_bf16_f32 v171, v182, v183                         // 0000000062AC: D26800AB 00036FB6
	v_cvt_pk_bf16_f32 v172, v184, v185                         // 0000000062B4: D26800AC 000373B8
	v_cvt_pk_bf16_f32 v173, v186, v187                         // 0000000062BC: D26800AD 000377BA
	v_cvt_pk_bf16_f32 v174, v188, v189                         // 0000000062C4: D26800AE 00037BBC
	v_cvt_pk_bf16_f32 v175, v190, v191                         // 0000000062CC: D26800AF 00037FBE
	s_cmp_ge_u32 s80, 0x200                                    // 0000000062D4: BF09FF50 00000200
	s_cselect_b32 s59, 0x200, s59                              // 0000000062DC: 853B3BFF 00000200
	s_setvskip s20, 0                                          // 0000000062E4: BF108014
	global_atomic_pk_add_bf16 v144, v128, s[8:9]               // 0000000062E8: DD488000 00088090
	s_setvskip 0, 0                                            // 0000000062F0: BF108080
	s_setvskip s20, 0                                          // 0000000062F4: BF108014
	global_atomic_pk_add_bf16 v144, v129, s[8:9] offset:256    // 0000000062F8: DD488100 00088190
	s_setvskip 0, 0                                            // 000000006300: BF108080
	s_setvskip s20, 1                                          // 000000006304: BF108114
	global_atomic_pk_add_bf16 v146, v130, s[8:9]               // 000000006308: DD488000 00088292
	s_setvskip 0, 0                                            // 000000006310: BF108080
	s_setvskip s20, 1                                          // 000000006314: BF108114
	global_atomic_pk_add_bf16 v146, v131, s[8:9] offset:256    // 000000006318: DD488100 00088392
	s_setvskip 0, 0                                            // 000000006320: BF108080
	s_setvskip s20, 2                                          // 000000006324: BF108214
	global_atomic_pk_add_bf16 v148, v132, s[8:9]               // 000000006328: DD488000 00088494
	s_setvskip 0, 0                                            // 000000006330: BF108080
	s_setvskip s20, 2                                          // 000000006334: BF108214
	global_atomic_pk_add_bf16 v148, v133, s[8:9] offset:256    // 000000006338: DD488100 00088594
	s_setvskip 0, 0                                            // 000000006340: BF108080
	s_setvskip s20, 3                                          // 000000006344: BF108314
	global_atomic_pk_add_bf16 v150, v134, s[8:9]               // 000000006348: DD488000 00088696
	s_setvskip 0, 0                                            // 000000006350: BF108080
	s_setvskip s20, 3                                          // 000000006354: BF108314
	global_atomic_pk_add_bf16 v150, v135, s[8:9] offset:256    // 000000006358: DD488100 00088796
	s_setvskip 0, 0                                            // 000000006360: BF108080
	s_setvskip s20, 4                                          // 000000006364: BF108414
	global_atomic_pk_add_bf16 v152, v136, s[8:9]               // 000000006368: DD488000 00088898
	s_setvskip 0, 0                                            // 000000006370: BF108080
	s_setvskip s20, 4                                          // 000000006374: BF108414
	global_atomic_pk_add_bf16 v152, v137, s[8:9] offset:256    // 000000006378: DD488100 00088998
	s_setvskip 0, 0                                            // 000000006380: BF108080
	s_setvskip s20, 5                                          // 000000006384: BF108514
	global_atomic_pk_add_bf16 v154, v138, s[8:9]               // 000000006388: DD488000 00088A9A
	s_setvskip 0, 0                                            // 000000006390: BF108080
	s_setvskip s20, 5                                          // 000000006394: BF108514
	global_atomic_pk_add_bf16 v154, v139, s[8:9] offset:256    // 000000006398: DD488100 00088B9A
	s_setvskip 0, 0                                            // 0000000063A0: BF108080
	s_setvskip s20, 6                                          // 0000000063A4: BF108614
	global_atomic_pk_add_bf16 v156, v140, s[8:9]               // 0000000063A8: DD488000 00088C9C
	s_setvskip 0, 0                                            // 0000000063B0: BF108080
	s_setvskip s20, 6                                          // 0000000063B4: BF108614
	global_atomic_pk_add_bf16 v156, v141, s[8:9] offset:256    // 0000000063B8: DD488100 00088D9C
	s_setvskip 0, 0                                            // 0000000063C0: BF108080
	s_setvskip s20, 7                                          // 0000000063C4: BF108714
	global_atomic_pk_add_bf16 v158, v142, s[8:9]               // 0000000063C8: DD488000 00088E9E
	s_setvskip 0, 0                                            // 0000000063D0: BF108080
	s_setvskip s20, 7                                          // 0000000063D4: BF108714
	global_atomic_pk_add_bf16 v158, v143, s[8:9] offset:256    // 0000000063D8: DD488100 00088F9E
	s_setvskip 0, 0                                            // 0000000063E0: BF108080
	s_add_u32 s8, s59, s8                                      // 0000000063E4: 8008083B
	s_addc_u32 s9, 0, s9                                       // 0000000063E8: 82090980
	s_addk_i32 s80, 0x100                                      // 0000000063EC: B7500100
	s_cmp_lt_i32 s80, s81                                      // 0000000063F0: BF045150
	s_cbranch_scc0 label_0EFB                                  // 0000000063F4: BF84017D
	s_waitcnt vmcnt(14) lgkmcnt(0)                             // 0000000063F8: BF8C007E
	s_barrier                                                  // 0000000063FC: BF8A0000
	v_mfma_scale_f32_16x16x128_f8f6f4 v[192:195], a[64:67], v[64:67], 0, v29, v43 op_sel_hi:[0,0,0] cbsz:4 blgp:4// 000000006400: D3AC6000 0002571D D3AD0CC0 8A028140
	ds_read_b32 v128, v9 offset:17408                          // 000000006410: D86C4400 80000009
	ds_read_b32 v129, v9 offset:21760                          // 000000006418: D86C5500 81000009
	ds_read_b32 v130, v9 offset:17416                          // 000000006420: D86C4408 82000009
	ds_read_b32 v131, v9 offset:21768                          // 000000006428: D86C5508 83000009
	v_mfma_scale_f32_16x16x128_f8f6f4 v[196:199], a[64:67], v[80:83], 0, v29, v43 op_sel_hi:[0,0,0] cbsz:4 blgp:4// 000000006430: D3AC7000 0002571D D3AD0CC4 8A02A140
	buffer_load_dwordx4 a[0:3], v60, s[12:15], 0 offen         // 000000006440: E05C1000 8083003C
	v_mfma_scale_f32_16x16x128_f8f6f4 v[200:203], a[68:71], v[64:67], 0, v29, v43 op_sel_hi:[0,0,0] cbsz:4 blgp:4// 000000006448: D3AC6800 0002571D D3AD0CC8 8A028144
	ds_read_b32 v132, v9 offset:17440                          // 000000006458: D86C4420 84000009
	ds_read_b32 v133, v9 offset:21792                          // 000000006460: D86C5520 85000009
	ds_read_b32 v134, v9 offset:17448                          // 000000006468: D86C4428 86000009
	ds_read_b32 v135, v9 offset:21800                          // 000000006470: D86C5528 87000009
	v_mfma_scale_f32_16x16x128_f8f6f4 v[204:207], a[68:71], v[80:83], 0, v29, v43 op_sel_hi:[0,0,0] cbsz:4 blgp:4// 000000006478: D3AC7800 0002571D D3AD0CCC 8A02A144
	buffer_load_dwordx4 a[4:7], v61, s[12:15], 0 offen         // 000000006488: E05C1000 8083043D
	buffer_load_dword v25, v10, s[16:19], 0 offen              // 000000006490: E0501000 8004190A
	buffer_load_dword v26, v11, s[16:19], 0 offen              // 000000006498: E0501000 80041A0B
	buffer_load_dword v27, v10, s[16:19], 0 offen offset:256   // 0000000064A0: E0501100 80041B0A
	buffer_load_dword v28, v11, s[16:19], 0 offen offset:256   // 0000000064A8: E0501100 80041C0B
	s_waitcnt vmcnt(18)                                        // 0000000064B0: BF8C4F72
	v_mfma_scale_f32_16x16x128_f8f6f4 v[208:211], a[72:75], v[64:67], 0, v30, v43 op_sel_hi:[0,0,0] cbsz:4 blgp:4// 0000000064B4: D3AC6000 0002571E D3AD0CD0 8A028148
	ds_read_b32 v136, v9 offset:26112                          // 0000000064C4: D86C6600 88000009
	ds_read_b32 v137, v9 offset:30464                          // 0000000064CC: D86C7700 89000009
	ds_read_b32 v138, v9 offset:26120                          // 0000000064D4: D86C6608 8A000009
	ds_read_b32 v139, v9 offset:30472                          // 0000000064DC: D86C7708 8B000009
	v_mfma_scale_f32_16x16x128_f8f6f4 v[212:215], a[72:75], v[80:83], 0, v30, v43 op_sel_hi:[0,0,0] cbsz:4 blgp:4// 0000000064E4: D3AC7000 0002571E D3AD0CD4 8A02A148
	buffer_load_dwordx4 a[8:11], v62, s[12:15], 0 offen        // 0000000064F4: E05C1000 8083083E
	v_mfma_scale_f32_16x16x128_f8f6f4 v[216:219], a[76:79], v[64:67], 0, v30, v43 op_sel_hi:[0,0,0] cbsz:4 blgp:4// 0000000064FC: D3AC6800 0002571E D3AD0CD8 8A02814C
	ds_read_b32 v140, v9 offset:26144                          // 00000000650C: D86C6620 8C000009
	ds_read_b32 v141, v9 offset:30496                          // 000000006514: D86C7720 8D000009
	ds_read_b32 v142, v9 offset:26152                          // 00000000651C: D86C6628 8E000009
	ds_read_b32 v143, v9 offset:30504                          // 000000006524: D86C7728 8F000009
	v_mfma_scale_f32_16x16x128_f8f6f4 v[220:223], a[76:79], v[80:83], 0, v30, v43 op_sel_hi:[0,0,0] cbsz:4 blgp:4// 00000000652C: D3AC7800 0002571E D3AD0CDC 8A02A14C
	buffer_load_dwordx4 a[12:15], v63, s[12:15], 0 offen       // 00000000653C: E05C1000 80830C3F
	buffer_load_dword v27, v10, s[16:19], 0 offen offset:256   // 000000006544: E0501100 80041B0A
	buffer_load_dword v28, v11, s[16:19], 0 offen offset:256   // 00000000654C: E0501100 80041C0B
	s_waitcnt vmcnt(18)                                        // 000000006554: BF8C4F72
	v_mfma_scale_f32_16x16x128_f8f6f4 v[192:195], a[80:83], v[68:71], v[192:195], v29, v43 op_sel_hi:[0,0,0] cbsz:4 blgp:4// 000000006558: D3AC6000 1802571D D3AD0CC0 8F028950
	ds_write_b64 v8, v[160:161]                                // 000000006568: D89A0000 0000A008
	ds_write_b64 v8, v[162:163] offset:8704                    // 000000006570: D89A2200 0000A208
	v_mfma_scale_f32_16x16x128_f8f6f4 v[196:199], a[80:83], v[84:87], v[196:199], v29, v43 op_sel_hi:[0,0,0] cbsz:4 blgp:4// 000000006578: D3AC7000 1802571D D3AD0CC4 8F12A950
	buffer_load_dwordx4 a[16:19], v60, s[12:15], 0 offen offset:1024// 000000006588: E05C1400 8083103C
	v_mfma_scale_f32_16x16x128_f8f6f4 v[200:203], a[84:87], v[68:71], v[200:203], v29, v43 op_sel_hi:[0,0,0] cbsz:4 blgp:4// 000000006590: D3AC6800 1802571D D3AD0CC8 8F228954
	ds_write_b64 v8, v[164:165] offset:544                     // 0000000065A0: D89A0220 0000A408
	ds_write_b64 v8, v[166:167] offset:9248                    // 0000000065A8: D89A2420 0000A608
	v_mfma_scale_f32_16x16x128_f8f6f4 v[204:207], a[84:87], v[84:87], v[204:207], v29, v43 op_sel_hi:[0,0,0] cbsz:4 blgp:4// 0000000065B0: D3AC7800 1802571D D3AD0CCC 8F32A954
	buffer_load_dwordx4 a[20:23], v61, s[12:15], 0 offen offset:1024// 0000000065C0: E05C1400 8083143D
	s_waitcnt vmcnt(18)                                        // 0000000065C8: BF8C4F72
	v_mfma_scale_f32_16x16x128_f8f6f4 v[208:211], a[88:91], v[68:71], v[208:211], v30, v43 op_sel_hi:[0,0,0] cbsz:4 blgp:4// 0000000065CC: D3AC6000 1802571E D3AD0CD0 8F428958
	ds_write_b64 v8, v[168:169] offset:4352                    // 0000000065DC: D89A1100 0000A808
	ds_write_b64 v8, v[170:171] offset:13056                   // 0000000065E4: D89A3300 0000AA08
	v_mfma_scale_f32_16x16x128_f8f6f4 v[212:215], a[88:91], v[84:87], v[212:215], v30, v43 op_sel_hi:[0,0,0] cbsz:4 blgp:4// 0000000065EC: D3AC7000 1802571E D3AD0CD4 8F52A958
	buffer_load_dwordx4 a[24:27], v62, s[12:15], 0 offen offset:1024// 0000000065FC: E05C1400 8083183E
	v_mfma_scale_f32_16x16x128_f8f6f4 v[216:219], a[92:95], v[68:71], v[216:219], v30, v43 op_sel_hi:[0,0,0] cbsz:4 blgp:4// 000000006604: D3AC6800 1802571E D3AD0CD8 8F62895C
	ds_write_b64 v8, v[172:173] offset:4896                    // 000000006614: D89A1320 0000AC08
	ds_write_b64 v8, v[174:175] offset:13600                   // 00000000661C: D89A3520 0000AE08
	v_mfma_scale_f32_16x16x128_f8f6f4 v[220:223], a[92:95], v[84:87], v[220:223], v30, v43 op_sel_hi:[0,0,0] cbsz:4 blgp:4// 000000006624: D3AC7800 1802571E D3AD0CDC 8F72A95C
	buffer_load_dwordx4 a[28:31], v63, s[12:15], 0 offen offset:1024// 000000006634: E05C1400 80831C3F
	s_waitcnt vmcnt(18)                                        // 00000000663C: BF8C4F72
	v_mfma_scale_f32_16x16x128_f8f6f4 v[192:195], a[96:99], v[72:75], v[192:195], v31, v44 op_sel_hi:[0,0,0] cbsz:4 blgp:4// 000000006640: D3AC6000 0002591F D3AD0CC0 8F029160
	v_mfma_scale_f32_16x16x128_f8f6f4 v[196:199], a[96:99], v[88:91], v[196:199], v31, v44 op_sel_hi:[0,0,0] cbsz:4 blgp:4// 000000006650: D3AC7000 0002591F D3AD0CC4 8F12B160
	buffer_load_dwordx4 a[32:35], v60, s[12:15], 0 offen offset:2048// 000000006660: E05C1800 8083203C
	v_mfma_scale_f32_16x16x128_f8f6f4 v[200:203], a[100:103], v[72:75], v[200:203], v31, v44 op_sel_hi:[0,0,0] cbsz:4 blgp:4// 000000006668: D3AC6800 0002591F D3AD0CC8 8F229164
	v_mfma_scale_f32_16x16x128_f8f6f4 v[204:207], a[100:103], v[88:91], v[204:207], v31, v44 op_sel_hi:[0,0,0] cbsz:4 blgp:4// 000000006678: D3AC7800 0002591F D3AD0CCC 8F32B164
	buffer_load_dwordx4 a[36:39], v61, s[12:15], 0 offen offset:2048// 000000006688: E05C1800 8083243D
	s_waitcnt vmcnt(18)                                        // 000000006690: BF8C4F72
	v_mfma_scale_f32_16x16x128_f8f6f4 v[208:211], a[104:107], v[72:75], v[208:211], v32, v44 op_sel_hi:[0,0,0] cbsz:4 blgp:4// 000000006694: D3AC6000 00025920 D3AD0CD0 8F429168
	v_mfma_scale_f32_16x16x128_f8f6f4 v[212:215], a[104:107], v[88:91], v[212:215], v32, v44 op_sel_hi:[0,0,0] cbsz:4 blgp:4// 0000000066A4: D3AC7000 00025920 D3AD0CD4 8F52B168
	buffer_load_dwordx4 a[40:43], v62, s[12:15], 0 offen offset:2048// 0000000066B4: E05C1800 8083283E
	v_mfma_scale_f32_16x16x128_f8f6f4 v[216:219], a[108:111], v[72:75], v[216:219], v32, v44 op_sel_hi:[0,0,0] cbsz:4 blgp:4// 0000000066BC: D3AC6800 00025920 D3AD0CD8 8F62916C
	v_mfma_scale_f32_16x16x128_f8f6f4 v[220:223], a[108:111], v[88:91], v[220:223], v32, v44 op_sel_hi:[0,0,0] cbsz:4 blgp:4// 0000000066CC: D3AC7800 00025920 D3AD0CDC 8F72B16C
	buffer_load_dwordx4 a[44:47], v63, s[12:15], 0 offen offset:2048// 0000000066DC: E05C1800 80832C3F
	s_waitcnt vmcnt(18)                                        // 0000000066E4: BF8C4F72
	v_mfma_scale_f32_16x16x128_f8f6f4 v[192:195], a[112:115], v[76:79], v[192:195], v31, v44 op_sel_hi:[0,0,0] cbsz:4 blgp:4// 0000000066E8: D3AC6000 1802591F D3AD0CC0 8F029970
	v_mfma_scale_f32_16x16x128_f8f6f4 v[196:199], a[112:115], v[92:95], v[196:199], v31, v44 op_sel_hi:[0,0,0] cbsz:4 blgp:4// 0000000066F8: D3AC7000 1802591F D3AD0CC4 8F12B970
	buffer_load_dwordx4 a[48:51], v60, s[12:15], 0 offen offset:3072// 000000006708: E05C1C00 8083303C
	v_mfma_scale_f32_16x16x128_f8f6f4 v[200:203], a[116:119], v[76:79], v[200:203], v31, v44 op_sel_hi:[0,0,0] cbsz:4 blgp:4// 000000006710: D3AC6800 1802591F D3AD0CC8 8F229974
	v_mfma_scale_f32_16x16x128_f8f6f4 v[204:207], a[116:119], v[92:95], v[204:207], v31, v44 op_sel_hi:[0,0,0] cbsz:4 blgp:4// 000000006720: D3AC7800 1802591F D3AD0CCC 8F32B974
	buffer_load_dwordx4 a[52:55], v61, s[12:15], 0 offen offset:3072// 000000006730: E05C1C00 8083343D
	s_waitcnt vmcnt(18)                                        // 000000006738: BF8C4F72
	v_mfma_scale_f32_16x16x128_f8f6f4 v[208:211], a[120:123], v[76:79], v[208:211], v32, v44 op_sel_hi:[0,0,0] cbsz:4 blgp:4// 00000000673C: D3AC6000 18025920 D3AD0CD0 8F429978
	v_mfma_scale_f32_16x16x128_f8f6f4 v[212:215], a[120:123], v[92:95], v[212:215], v32, v44 op_sel_hi:[0,0,0] cbsz:4 blgp:4// 00000000674C: D3AC7000 18025920 D3AD0CD4 8F52B978
	buffer_load_dwordx4 a[56:59], v62, s[12:15], 0 offen offset:3072// 00000000675C: E05C1C00 8083383E
	v_mfma_scale_f32_16x16x128_f8f6f4 v[216:219], a[124:127], v[76:79], v[216:219], v32, v44 op_sel_hi:[0,0,0] cbsz:4 blgp:4// 000000006764: D3AC6800 18025920 D3AD0CD8 8F62997C
	v_mfma_scale_f32_16x16x128_f8f6f4 v[220:223], a[124:127], v[92:95], v[220:223], v32, v44 op_sel_hi:[0,0,0] cbsz:4 blgp:4// 000000006774: D3AC7800 18025920 D3AD0CDC 8F72B97C
	buffer_load_dwordx4 a[60:63], v63, s[12:15], 0 offen offset:3072// 000000006784: E05C1C00 80833C3F
	s_add_u32 s60, 0x200, s80                                  // 00000000678C: 803C50FF 00000200
	s_cmp_lt_u32 s60, s81                                      // 000000006794: BF0A513C
	s_cselect_b32 s56, s56, 0                                  // 000000006798: 85388038
	s_cselect_b32 s78, s78, 0                                  // 00000000679C: 854E804E
	s_cselect_b32 s79, s79, 0                                  // 0000000067A0: 854F804F
	s_add_u32 s12, s56, s12                                    // 0000000067A4: 800C0C38
	s_addc_u32 s13, 0, s13                                     // 0000000067A8: 820D0D80
	s_add_u32 s16, s79, s16                                    // 0000000067AC: 8010104F
	s_addc_u32 s17, 0, s17                                     // 0000000067B0: 82111180
	v_mov_b32_e32 v2, v41                                      // 0000000067B4: 7E040329
	v_mov_b32_e32 v3, v41                                      // 0000000067B8: 7E060329
	v_pk_mul_f32 v[192:193], v[2:3], v[192:193]                // 0000000067BC: D3B140C0 18038102
	v_pk_mul_f32 v[194:195], v[2:3], v[194:195]                // 0000000067C4: D3B140C2 18038502
	v_pk_mul_f32 v[200:201], v[2:3], v[200:201]                // 0000000067CC: D3B140C8 18039102
	v_pk_mul_f32 v[202:203], v[2:3], v[202:203]                // 0000000067D4: D3B140CA 18039502
	v_pk_mul_f32 v[208:209], v[2:3], v[208:209]                // 0000000067DC: D3B140D0 1803A102
	v_pk_mul_f32 v[210:211], v[2:3], v[210:211]                // 0000000067E4: D3B140D2 1803A502
	v_pk_mul_f32 v[216:217], v[2:3], v[216:217]                // 0000000067EC: D3B140D8 1803B102
	v_pk_mul_f32 v[218:219], v[2:3], v[218:219]                // 0000000067F4: D3B140DA 1803B502
	v_mov_b32_e32 v2, v42                                      // 0000000067FC: 7E04032A
	v_mov_b32_e32 v3, v42                                      // 000000006800: 7E06032A
	v_pk_mul_f32 v[196:197], v[2:3], v[196:197]                // 000000006804: D3B140C4 18038902
	v_pk_mul_f32 v[198:199], v[2:3], v[198:199]                // 00000000680C: D3B140C6 18038D02
	v_pk_mul_f32 v[204:205], v[2:3], v[204:205]                // 000000006814: D3B140CC 18039902
	v_pk_mul_f32 v[206:207], v[2:3], v[206:207]                // 00000000681C: D3B140CE 18039D02
	v_pk_mul_f32 v[212:213], v[2:3], v[212:213]                // 000000006824: D3B140D4 1803A902
	v_pk_mul_f32 v[214:215], v[2:3], v[214:215]                // 00000000682C: D3B140D6 1803AD02
	v_pk_mul_f32 v[220:221], v[2:3], v[220:221]                // 000000006834: D3B140DC 1803B902
	v_pk_mul_f32 v[222:223], v[2:3], v[222:223]                // 00000000683C: D3B140DE 1803BD02
	v_cvt_pk_bf16_f32 v192, v192, v193                         // 000000006844: D26800C0 000383C0
	v_cvt_pk_bf16_f32 v193, v194, v195                         // 00000000684C: D26800C1 000387C2
	v_cvt_pk_bf16_f32 v194, v196, v197                         // 000000006854: D26800C2 00038BC4
	v_cvt_pk_bf16_f32 v195, v198, v199                         // 00000000685C: D26800C3 00038FC6
	v_cvt_pk_bf16_f32 v196, v200, v201                         // 000000006864: D26800C4 000393C8
	v_cvt_pk_bf16_f32 v197, v202, v203                         // 00000000686C: D26800C5 000397CA
	v_cvt_pk_bf16_f32 v198, v204, v205                         // 000000006874: D26800C6 00039BCC
	v_cvt_pk_bf16_f32 v199, v206, v207                         // 00000000687C: D26800C7 00039FCE
	v_cvt_pk_bf16_f32 v200, v208, v209                         // 000000006884: D26800C8 0003A3D0
	v_cvt_pk_bf16_f32 v201, v210, v211                         // 00000000688C: D26800C9 0003A7D2
	v_cvt_pk_bf16_f32 v202, v212, v213                         // 000000006894: D26800CA 0003ABD4
	v_cvt_pk_bf16_f32 v203, v214, v215                         // 00000000689C: D26800CB 0003AFD6
	v_cvt_pk_bf16_f32 v204, v216, v217                         // 0000000068A4: D26800CC 0003B3D8
	v_cvt_pk_bf16_f32 v205, v218, v219                         // 0000000068AC: D26800CD 0003B7DA
	v_cvt_pk_bf16_f32 v206, v220, v221                         // 0000000068B4: D26800CE 0003BBDC
	v_cvt_pk_bf16_f32 v207, v222, v223                         // 0000000068BC: D26800CF 0003BFDE
	s_cmp_ge_u32 s80, 0x200                                    // 0000000068C4: BF09FF50 00000200
	s_cselect_b32 s59, 0x200, s59                              // 0000000068CC: 853B3BFF 00000200
	s_setvskip s20, 0                                          // 0000000068D4: BF108014
	global_atomic_pk_add_bf16 v144, v128, s[8:9]               // 0000000068D8: DD488000 00088090
	s_setvskip 0, 0                                            // 0000000068E0: BF108080
	s_setvskip s20, 0                                          // 0000000068E4: BF108014
	global_atomic_pk_add_bf16 v144, v129, s[8:9] offset:256    // 0000000068E8: DD488100 00088190
	s_setvskip 0, 0                                            // 0000000068F0: BF108080
	s_setvskip s20, 1                                          // 0000000068F4: BF108114
	global_atomic_pk_add_bf16 v146, v130, s[8:9]               // 0000000068F8: DD488000 00088292
	s_setvskip 0, 0                                            // 000000006900: BF108080
	s_setvskip s20, 1                                          // 000000006904: BF108114
	global_atomic_pk_add_bf16 v146, v131, s[8:9] offset:256    // 000000006908: DD488100 00088392
	s_setvskip 0, 0                                            // 000000006910: BF108080
	s_setvskip s20, 2                                          // 000000006914: BF108214
	global_atomic_pk_add_bf16 v148, v132, s[8:9]               // 000000006918: DD488000 00088494
	s_setvskip 0, 0                                            // 000000006920: BF108080
	s_setvskip s20, 2                                          // 000000006924: BF108214
	global_atomic_pk_add_bf16 v148, v133, s[8:9] offset:256    // 000000006928: DD488100 00088594
	s_setvskip 0, 0                                            // 000000006930: BF108080
	s_setvskip s20, 3                                          // 000000006934: BF108314
	global_atomic_pk_add_bf16 v150, v134, s[8:9]               // 000000006938: DD488000 00088696
	s_setvskip 0, 0                                            // 000000006940: BF108080
	s_setvskip s20, 3                                          // 000000006944: BF108314
	global_atomic_pk_add_bf16 v150, v135, s[8:9] offset:256    // 000000006948: DD488100 00088796
	s_setvskip 0, 0                                            // 000000006950: BF108080
	s_setvskip s20, 4                                          // 000000006954: BF108414
	global_atomic_pk_add_bf16 v152, v136, s[8:9]               // 000000006958: DD488000 00088898
	s_setvskip 0, 0                                            // 000000006960: BF108080
	s_setvskip s20, 4                                          // 000000006964: BF108414
	global_atomic_pk_add_bf16 v152, v137, s[8:9] offset:256    // 000000006968: DD488100 00088998
	s_setvskip 0, 0                                            // 000000006970: BF108080
	s_setvskip s20, 5                                          // 000000006974: BF108514
	global_atomic_pk_add_bf16 v154, v138, s[8:9]               // 000000006978: DD488000 00088A9A
	s_setvskip 0, 0                                            // 000000006980: BF108080
	s_setvskip s20, 5                                          // 000000006984: BF108514
	global_atomic_pk_add_bf16 v154, v139, s[8:9] offset:256    // 000000006988: DD488100 00088B9A
	s_setvskip 0, 0                                            // 000000006990: BF108080
	s_setvskip s20, 6                                          // 000000006994: BF108614
	global_atomic_pk_add_bf16 v156, v140, s[8:9]               // 000000006998: DD488000 00088C9C
	s_setvskip 0, 0                                            // 0000000069A0: BF108080
	s_setvskip s20, 6                                          // 0000000069A4: BF108614
	global_atomic_pk_add_bf16 v156, v141, s[8:9] offset:256    // 0000000069A8: DD488100 00088D9C
	s_setvskip 0, 0                                            // 0000000069B0: BF108080
	s_setvskip s20, 7                                          // 0000000069B4: BF108714
	global_atomic_pk_add_bf16 v158, v142, s[8:9]               // 0000000069B8: DD488000 00088E9E
	s_setvskip 0, 0                                            // 0000000069C0: BF108080
	s_setvskip s20, 7                                          // 0000000069C4: BF108714
	global_atomic_pk_add_bf16 v158, v143, s[8:9] offset:256    // 0000000069C8: DD488100 00088F9E
	s_setvskip 0, 0                                            // 0000000069D0: BF108080
	s_add_u32 s8, s59, s8                                      // 0000000069D4: 8008083B
	s_addc_u32 s9, 0, s9                                       // 0000000069D8: 82090980
	s_addk_i32 s80, 0x100                                      // 0000000069DC: B7500100
	s_cmp_lt_i32 s80, s81                                      // 0000000069E0: BF045150
	s_cbranch_scc0 label_0EFB                                  // 0000000069E4: BF840001
	s_branch label_0C02                                        // 0000000069E8: BF82FD07

00000000000069ec <label_0EFB>:
	s_nop 0                                                    // 0000000069EC: BF800000
	s_nop 0                                                    // 0000000069F0: BF800000
	s_branch label_1B68                                        // 0000000069F4: BF820C6A

00000000000069f8 <label_0EFE>:
	s_waitcnt vmcnt(14) lgkmcnt(0)                             // 0000000069F8: BF8C007E
	s_barrier                                                  // 0000000069FC: BF8A0000
	v_mfma_scale_f32_16x16x128_f8f6f4 v[64:67], a[0:3], v[192:195], v[64:67], v25, v23 op_sel_hi:[0,0,0] cbsz:4 blgp:4// 000000006A00: D3AC6000 00022F19 D3AD0C40 8D038100
	buffer_load_dwordx4 a[64:67], v52, s[92:95], 0 offen       // 000000006A10: E05C1000 80974034
	buffer_load_dwordx4 v51, s[20:23], 0 offen lds             // 000000006A18: E05D1000 80050033
	s_add_u32 m0, 0, s50                                       // 000000006A20: 807C3280
	v_mfma_scale_f32_16x16x128_f8f6f4 v[96:99], a[0:3], v[200:203], v[96:99], v25, v23 op_sel_hi:[0,0,0] cbsz:4 blgp:4// 000000006A24: D3AC7000 00022F19 D3AD0C60 8D839100
	v_mfma_scale_f32_16x16x128_f8f6f4 v[68:71], a[4:7], v[192:195], v[68:71], v25, v23 op_sel_hi:[0,0,0] cbsz:4 blgp:4// 000000006A34: D3AC6800 00022F19 D3AD0C44 8D138104
	buffer_load_dwordx4 a[68:71], v53, s[92:95], 0 offen       // 000000006A44: E05C1000 80974435
	buffer_load_dword v24, v12, s[28:31], 0 offen              // 000000006A4C: E0501000 8007180C
	buffer_load_dword v33, v19, s[32:35], 0 offen              // 000000006A54: E0501000 80082113
	buffer_load_dword v34, v20, s[32:35], 0 offen              // 000000006A5C: E0501000 80082214
	buffer_load_dword v35, v21, s[32:35], 0 offen              // 000000006A64: E0501000 80082315
	buffer_load_dword v36, v22, s[32:35], 0 offen              // 000000006A6C: E0501000 80082416
	v_mfma_scale_f32_16x16x128_f8f6f4 v[100:103], a[4:7], v[200:203], v[100:103], v25, v23 op_sel_hi:[0,0,0] cbsz:4 blgp:4// 000000006A74: D3AC7800 00022F19 D3AD0C64 8D939104
	s_waitcnt vmcnt(20)                                        // 000000006A84: BF8C4F74
	v_mfma_scale_f32_16x16x128_f8f6f4 v[72:75], a[8:11], v[192:195], v[72:75], v26, v23 op_sel_hi:[0,0,0] cbsz:4 blgp:4// 000000006A88: D3AC6000 00022F1A D3AD0C48 8D238108
	buffer_load_dwordx4 a[72:75], v54, s[92:95], 0 offen       // 000000006A98: E05C1000 80974836
	v_mfma_scale_f32_16x16x128_f8f6f4 v[104:107], a[8:11], v[200:203], v[104:107], v26, v23 op_sel_hi:[0,0,0] cbsz:4 blgp:4// 000000006AA0: D3AC7000 00022F1A D3AD0C68 8DA39108
	v_mfma_scale_f32_16x16x128_f8f6f4 v[76:79], a[12:15], v[192:195], v[76:79], v26, v23 op_sel_hi:[0,0,0] cbsz:4 blgp:4// 000000006AB0: D3AC6800 00022F1A D3AD0C4C 8D33810C
	buffer_load_dwordx4 a[76:79], v55, s[92:95], 0 offen       // 000000006AC0: E05C1000 80974C37
	v_mfma_scale_f32_16x16x128_f8f6f4 v[108:111], a[12:15], v[200:203], v[108:111], v26, v23 op_sel_hi:[0,0,0] cbsz:4 blgp:4// 000000006AC8: D3AC7800 00022F1A D3AD0C6C 8DB3910C
	s_waitcnt vmcnt(20)                                        // 000000006AD8: BF8C4F74
	v_mfma_scale_f32_16x16x128_f8f6f4 v[80:83], a[16:19], v[192:195], v[80:83], v27, v23 op_sel_hi:[0,0,0] cbsz:4 blgp:4// 000000006ADC: D3AC6000 00022F1B D3AD0C50 8D438110
	buffer_load_dwordx4 a[80:83], v56, s[92:95], 0 offen       // 000000006AEC: E05C1000 80975038
	v_mfma_scale_f32_16x16x128_f8f6f4 v[112:115], a[16:19], v[200:203], v[112:115], v27, v23 op_sel_hi:[0,0,0] cbsz:4 blgp:4// 000000006AF4: D3AC7000 00022F1B D3AD0C70 8DC39110
	v_mfma_scale_f32_16x16x128_f8f6f4 v[84:87], a[20:23], v[192:195], v[84:87], v27, v23 op_sel_hi:[0,0,0] cbsz:4 blgp:4// 000000006B04: D3AC6800 00022F1B D3AD0C54 8D538114
	buffer_load_dwordx4 a[84:87], v57, s[92:95], 0 offen       // 000000006B14: E05C1000 80975439
	v_mfma_scale_f32_16x16x128_f8f6f4 v[116:119], a[20:23], v[200:203], v[116:119], v27, v23 op_sel_hi:[0,0,0] cbsz:4 blgp:4// 000000006B1C: D3AC7800 00022F1B D3AD0C74 8DD39114
	s_waitcnt vmcnt(20)                                        // 000000006B2C: BF8C4F74
	v_mfma_scale_f32_16x16x128_f8f6f4 v[88:91], a[24:27], v[192:195], v[88:91], v28, v23 op_sel_hi:[0,0,0] cbsz:4 blgp:4// 000000006B30: D3AC6000 00022F1C D3AD0C58 8D638118
	buffer_load_dwordx4 a[88:91], v58, s[92:95], 0 offen       // 000000006B40: E05C1000 8097583A
	v_mfma_scale_f32_16x16x128_f8f6f4 v[120:123], a[24:27], v[200:203], v[120:123], v28, v23 op_sel_hi:[0,0,0] cbsz:4 blgp:4// 000000006B48: D3AC7000 00022F1C D3AD0C78 8DE39118
	v_mfma_scale_f32_16x16x128_f8f6f4 v[92:95], a[28:31], v[192:195], v[92:95], v28, v23 op_sel_hi:[0,0,0] cbsz:4 blgp:4// 000000006B58: D3AC6800 00022F1C D3AD0C5C 8D73811C
	buffer_load_dwordx4 a[92:95], v59, s[92:95], 0 offen       // 000000006B68: E05C1000 80975C3B
	v_mfma_scale_f32_16x16x128_f8f6f4 v[124:127], a[28:31], v[200:203], v[124:127], v28, v23 op_sel_hi:[0,0,0] cbsz:4 blgp:4// 000000006B70: D3AC7800 00022F1C D3AD0C7C 8DF3911C
	s_nop 0                                                    // 000000006B80: BF800000
	s_waitcnt vmcnt(20)                                        // 000000006B84: BF8C4F74
	v_mfma_scale_f32_16x16x128_f8f6f4 v[64:67], a[32:35], v[196:199], v[64:67], v25, v23 op_sel_hi:[0,0,0] cbsz:4 blgp:4// 000000006B88: D3AC6000 18022F19 D3AD0C40 8D038920
	buffer_load_dwordx4 a[96:99], v52, s[92:95], 0 offen offset:1024// 000000006B98: E05C1400 80976034
	v_mfma_scale_f32_16x16x128_f8f6f4 v[96:99], a[32:35], v[204:207], v[96:99], v25, v23 op_sel_hi:[0,0,0] cbsz:4 blgp:4// 000000006BA0: D3AC7000 18022F19 D3AD0C60 8D839920
	v_mfma_scale_f32_16x16x128_f8f6f4 v[68:71], a[36:39], v[196:199], v[68:71], v25, v23 op_sel_hi:[0,0,0] cbsz:4 blgp:4// 000000006BB0: D3AC6800 18022F19 D3AD0C44 8D138924
	buffer_load_dwordx4 a[100:103], v53, s[92:95], 0 offen offset:1024// 000000006BC0: E05C1400 80976435
	v_mfma_scale_f32_16x16x128_f8f6f4 v[100:103], a[36:39], v[204:207], v[100:103], v25, v23 op_sel_hi:[0,0,0] cbsz:4 blgp:4// 000000006BC8: D3AC7800 18022F19 D3AD0C64 8D939924
	s_waitcnt vmcnt(20)                                        // 000000006BD8: BF8C4F74
	v_mfma_scale_f32_16x16x128_f8f6f4 v[72:75], a[40:43], v[196:199], v[72:75], v26, v23 op_sel_hi:[0,0,0] cbsz:4 blgp:4// 000000006BDC: D3AC6000 18022F1A D3AD0C48 8D238928
	buffer_load_dwordx4 a[104:107], v54, s[92:95], 0 offen offset:1024// 000000006BEC: E05C1400 80976836
	v_mfma_scale_f32_16x16x128_f8f6f4 v[104:107], a[40:43], v[204:207], v[104:107], v26, v23 op_sel_hi:[0,0,0] cbsz:4 blgp:4// 000000006BF4: D3AC7000 18022F1A D3AD0C68 8DA39928
	v_mfma_scale_f32_16x16x128_f8f6f4 v[76:79], a[44:47], v[196:199], v[76:79], v26, v23 op_sel_hi:[0,0,0] cbsz:4 blgp:4// 000000006C04: D3AC6800 18022F1A D3AD0C4C 8D33892C
	buffer_load_dwordx4 a[108:111], v55, s[92:95], 0 offen offset:1024// 000000006C14: E05C1400 80976C37
	v_mfma_scale_f32_16x16x128_f8f6f4 v[108:111], a[44:47], v[204:207], v[108:111], v26, v23 op_sel_hi:[0,0,0] cbsz:4 blgp:4// 000000006C1C: D3AC7800 18022F1A D3AD0C6C 8DB3992C
	s_waitcnt vmcnt(20)                                        // 000000006C2C: BF8C4F74
	v_mfma_scale_f32_16x16x128_f8f6f4 v[80:83], a[48:51], v[196:199], v[80:83], v27, v23 op_sel_hi:[0,0,0] cbsz:4 blgp:4// 000000006C30: D3AC6000 18022F1B D3AD0C50 8D438930
	buffer_load_dwordx4 a[112:115], v56, s[92:95], 0 offen offset:1024// 000000006C40: E05C1400 80977038
	v_mfma_scale_f32_16x16x128_f8f6f4 v[112:115], a[48:51], v[204:207], v[112:115], v27, v23 op_sel_hi:[0,0,0] cbsz:4 blgp:4// 000000006C48: D3AC7000 18022F1B D3AD0C70 8DC39930
	v_mfma_scale_f32_16x16x128_f8f6f4 v[84:87], a[52:55], v[196:199], v[84:87], v27, v23 op_sel_hi:[0,0,0] cbsz:4 blgp:4// 000000006C58: D3AC6800 18022F1B D3AD0C54 8D538934
	buffer_load_dwordx4 a[116:119], v57, s[92:95], 0 offen offset:1024// 000000006C68: E05C1400 80977439
	v_mfma_scale_f32_16x16x128_f8f6f4 v[116:119], a[52:55], v[204:207], v[116:119], v27, v23 op_sel_hi:[0,0,0] cbsz:4 blgp:4// 000000006C70: D3AC7800 18022F1B D3AD0C74 8DD39934
	s_waitcnt vmcnt(20)                                        // 000000006C80: BF8C4F74
	v_mfma_scale_f32_16x16x128_f8f6f4 v[88:91], a[56:59], v[196:199], v[88:91], v28, v23 op_sel_hi:[0,0,0] cbsz:4 blgp:4// 000000006C84: D3AC6000 18022F1C D3AD0C58 8D638938
	buffer_load_dwordx4 a[120:123], v58, s[92:95], 0 offen offset:1024// 000000006C94: E05C1400 8097783A
	v_mfma_scale_f32_16x16x128_f8f6f4 v[120:123], a[56:59], v[204:207], v[120:123], v28, v23 op_sel_hi:[0,0,0] cbsz:4 blgp:4// 000000006C9C: D3AC7000 18022F1C D3AD0C78 8DE39938
	v_mfma_scale_f32_16x16x128_f8f6f4 v[92:95], a[60:63], v[196:199], v[92:95], v28, v23 op_sel_hi:[0,0,0] cbsz:4 blgp:4// 000000006CAC: D3AC6800 18022F1C D3AD0C5C 8D73893C
	buffer_load_dwordx4 a[124:127], v59, s[92:95], 0 offen offset:1024// 000000006CBC: E05C1400 80977C3B
	v_mfma_scale_f32_16x16x128_f8f6f4 v[124:127], a[60:63], v[204:207], v[124:127], v28, v23 op_sel_hi:[0,0,0] cbsz:4 blgp:4// 000000006CC4: D3AC7800 18022F1C D3AD0C7C 8DF3993C
	s_add_u32 s60, 0x100, s80                                  // 000000006CD4: 803C50FF 00000100
	s_cmp_lt_u32 s60, s81                                      // 000000006CDC: BF0A513C
	s_cselect_b32 s4, s4, 0                                    // 000000006CE0: 85048004
	s_add_u32 s32, s4, s32                                     // 000000006CE4: 80202004
	s_addc_u32 s33, 0, s33                                     // 000000006CE8: 82212180
	s_waitcnt vmcnt(14)                                        // 000000006CEC: BF8C0F7E
	s_barrier                                                  // 000000006CF0: BF8A0000
	v_mfma_scale_f32_16x16x128_f8f6f4 v[128:131], a[64:67], v[192:195], v[128:131], v33, v23 op_sel_hi:[0,0,0] cbsz:4 blgp:4// 000000006CF4: D3AC6000 00022F21 D3AD0C80 8E038140
	buffer_load_dwordx4 a[0:3], v52, s[24:27], 0 offen         // 000000006D04: E05C1000 80860034
	buffer_load_dword v29, v15, s[32:35], 0 offen              // 000000006D0C: E0501000 80081D0F
	buffer_load_dword v30, v16, s[32:35], 0 offen              // 000000006D14: E0501000 80081E10
	v_mfma_scale_f32_16x16x128_f8f6f4 v[160:163], a[64:67], v[200:203], v[160:163], v33, v23 op_sel_hi:[0,0,0] cbsz:4 blgp:4// 000000006D1C: D3AC7000 00022F21 D3AD0CA0 8E839140
	v_mfma_scale_f32_16x16x128_f8f6f4 v[132:135], a[68:71], v[192:195], v[132:135], v33, v23 op_sel_hi:[0,0,0] cbsz:4 blgp:4// 000000006D2C: D3AC6800 00022F21 D3AD0C84 8E138144
	buffer_load_dwordx4 a[4:7], v53, s[24:27], 0 offen         // 000000006D3C: E05C1000 80860435
	buffer_load_dword v31, v17, s[32:35], 0 offen              // 000000006D44: E0501000 80081F11
	buffer_load_dword v32, v18, s[32:35], 0 offen              // 000000006D4C: E0501000 80082012
	v_mfma_scale_f32_16x16x128_f8f6f4 v[164:167], a[68:71], v[200:203], v[164:167], v33, v23 op_sel_hi:[0,0,0] cbsz:4 blgp:4// 000000006D54: D3AC7800 00022F21 D3AD0CA4 8E939144
	s_waitcnt vmcnt(18)                                        // 000000006D64: BF8C4F72
	v_mfma_scale_f32_16x16x128_f8f6f4 v[136:139], a[72:75], v[192:195], v[136:139], v34, v23 op_sel_hi:[0,0,0] cbsz:4 blgp:4// 000000006D68: D3AC6000 00022F22 D3AD0C88 8E238148
	buffer_load_dwordx4 a[8:11], v54, s[24:27], 0 offen        // 000000006D78: E05C1000 80860836
	v_mfma_scale_f32_16x16x128_f8f6f4 v[168:171], a[72:75], v[200:203], v[168:171], v34, v23 op_sel_hi:[0,0,0] cbsz:4 blgp:4// 000000006D80: D3AC7000 00022F22 D3AD0CA8 8EA39148
	v_mfma_scale_f32_16x16x128_f8f6f4 v[140:143], a[76:79], v[192:195], v[140:143], v34, v23 op_sel_hi:[0,0,0] cbsz:4 blgp:4// 000000006D90: D3AC6800 00022F22 D3AD0C8C 8E33814C
	buffer_load_dwordx4 a[12:15], v55, s[24:27], 0 offen       // 000000006DA0: E05C1000 80860C37
	v_mfma_scale_f32_16x16x128_f8f6f4 v[172:175], a[76:79], v[200:203], v[172:175], v34, v23 op_sel_hi:[0,0,0] cbsz:4 blgp:4// 000000006DA8: D3AC7800 00022F22 D3AD0CAC 8EB3914C
	s_waitcnt vmcnt(18)                                        // 000000006DB8: BF8C4F72
	v_mfma_scale_f32_16x16x128_f8f6f4 v[144:147], a[80:83], v[192:195], v[144:147], v35, v23 op_sel_hi:[0,0,0] cbsz:4 blgp:4// 000000006DBC: D3AC6000 00022F23 D3AD0C90 8E438150
	buffer_load_dwordx4 a[16:19], v56, s[24:27], 0 offen       // 000000006DCC: E05C1000 80861038
	v_mfma_scale_f32_16x16x128_f8f6f4 v[176:179], a[80:83], v[200:203], v[176:179], v35, v23 op_sel_hi:[0,0,0] cbsz:4 blgp:4// 000000006DD4: D3AC7000 00022F23 D3AD0CB0 8EC39150
	v_mfma_scale_f32_16x16x128_f8f6f4 v[148:151], a[84:87], v[192:195], v[148:151], v35, v23 op_sel_hi:[0,0,0] cbsz:4 blgp:4// 000000006DE4: D3AC6800 00022F23 D3AD0C94 8E538154
	buffer_load_dwordx4 a[20:23], v57, s[24:27], 0 offen       // 000000006DF4: E05C1000 80861439
	v_mfma_scale_f32_16x16x128_f8f6f4 v[180:183], a[84:87], v[200:203], v[180:183], v35, v23 op_sel_hi:[0,0,0] cbsz:4 blgp:4// 000000006DFC: D3AC7800 00022F23 D3AD0CB4 8ED39154
	s_waitcnt vmcnt(18)                                        // 000000006E0C: BF8C4F72
	v_mfma_scale_f32_16x16x128_f8f6f4 v[152:155], a[88:91], v[192:195], v[152:155], v36, v23 op_sel_hi:[0,0,0] cbsz:4 blgp:4// 000000006E10: D3AC6000 00022F24 D3AD0C98 8E638158
	buffer_load_dwordx4 a[24:27], v58, s[24:27], 0 offen       // 000000006E20: E05C1000 8086183A
	v_mfma_scale_f32_16x16x128_f8f6f4 v[184:187], a[88:91], v[200:203], v[184:187], v36, v23 op_sel_hi:[0,0,0] cbsz:4 blgp:4// 000000006E28: D3AC7000 00022F24 D3AD0CB8 8EE39158
	v_mfma_scale_f32_16x16x128_f8f6f4 v[156:159], a[92:95], v[192:195], v[156:159], v36, v23 op_sel_hi:[0,0,0] cbsz:4 blgp:4// 000000006E38: D3AC6800 00022F24 D3AD0C9C 8E73815C
	buffer_load_dwordx4 a[28:31], v59, s[24:27], 0 offen       // 000000006E48: E05C1000 80861C3B
	v_mfma_scale_f32_16x16x128_f8f6f4 v[188:191], a[92:95], v[200:203], v[188:191], v36, v23 op_sel_hi:[0,0,0] cbsz:4 blgp:4// 000000006E50: D3AC7800 00022F24 D3AD0CBC 8EF3915C
	s_waitcnt vmcnt(18)                                        // 000000006E60: BF8C4F72
	v_mfma_scale_f32_16x16x128_f8f6f4 v[128:131], a[96:99], v[196:199], v[128:131], v33, v23 op_sel_hi:[0,0,0] cbsz:4 blgp:4// 000000006E64: D3AC6000 18022F21 D3AD0C80 8E038960
	buffer_load_dwordx4 a[32:35], v52, s[24:27], 0 offen offset:1024// 000000006E74: E05C1400 80862034
	v_mfma_scale_f32_16x16x128_f8f6f4 v[160:163], a[96:99], v[204:207], v[160:163], v33, v23 op_sel_hi:[0,0,0] cbsz:4 blgp:4// 000000006E7C: D3AC7000 18022F21 D3AD0CA0 8E839960
	ds_read_b128 v[208:211], v6 offset:4224                    // 000000006E8C: D9FE1080 D0000006
	ds_read_b128 v[212:215], v6 offset:4288                    // 000000006E94: D9FE10C0 D4000006
	v_mfma_scale_f32_16x16x128_f8f6f4 v[132:135], a[100:103], v[196:199], v[132:135], v33, v23 op_sel_hi:[0,0,0] cbsz:4 blgp:4// 000000006E9C: D3AC6800 18022F21 D3AD0C84 8E138964
	buffer_load_dwordx4 a[36:39], v53, s[24:27], 0 offen offset:1024// 000000006EAC: E05C1400 80862435
	v_mfma_scale_f32_16x16x128_f8f6f4 v[164:167], a[100:103], v[204:207], v[164:167], v33, v23 op_sel_hi:[0,0,0] cbsz:4 blgp:4// 000000006EB4: D3AC7800 18022F21 D3AD0CA4 8E939964
	ds_read_b128 v[216:219], v6 offset:4736                    // 000000006EC4: D9FE1280 D8000006
	ds_read_b128 v[220:223], v6 offset:4800                    // 000000006ECC: D9FE12C0 DC000006
	s_waitcnt vmcnt(18)                                        // 000000006ED4: BF8C4F72
	v_mfma_scale_f32_16x16x128_f8f6f4 v[136:139], a[104:107], v[196:199], v[136:139], v34, v23 op_sel_hi:[0,0,0] cbsz:4 blgp:4// 000000006ED8: D3AC6000 18022F22 D3AD0C88 8E238968
	buffer_load_dwordx4 a[40:43], v54, s[24:27], 0 offen offset:1024// 000000006EE8: E05C1400 80862836
	v_mfma_scale_f32_16x16x128_f8f6f4 v[168:171], a[104:107], v[204:207], v[168:171], v34, v23 op_sel_hi:[0,0,0] cbsz:4 blgp:4// 000000006EF0: D3AC7000 18022F22 D3AD0CA8 8EA39968
	v_mfma_scale_f32_16x16x128_f8f6f4 v[140:143], a[108:111], v[196:199], v[140:143], v34, v23 op_sel_hi:[0,0,0] cbsz:4 blgp:4// 000000006F00: D3AC6800 18022F22 D3AD0C8C 8E33896C
	buffer_load_dwordx4 a[44:47], v55, s[24:27], 0 offen offset:1024// 000000006F10: E05C1400 80862C37
	v_mfma_scale_f32_16x16x128_f8f6f4 v[172:175], a[108:111], v[204:207], v[172:175], v34, v23 op_sel_hi:[0,0,0] cbsz:4 blgp:4// 000000006F18: D3AC7800 18022F22 D3AD0CAC 8EB3996C
	s_waitcnt vmcnt(18)                                        // 000000006F28: BF8C4F72
	v_mfma_scale_f32_16x16x128_f8f6f4 v[144:147], a[112:115], v[196:199], v[144:147], v35, v23 op_sel_hi:[0,0,0] cbsz:4 blgp:4// 000000006F2C: D3AC6000 18022F23 D3AD0C90 8E438970
	buffer_load_dwordx4 a[48:51], v56, s[24:27], 0 offen offset:1024// 000000006F3C: E05C1400 80863038
	v_mfma_scale_f32_16x16x128_f8f6f4 v[176:179], a[112:115], v[204:207], v[176:179], v35, v23 op_sel_hi:[0,0,0] cbsz:4 blgp:4// 000000006F44: D3AC7000 18022F23 D3AD0CB0 8EC39970
	v_mfma_scale_f32_16x16x128_f8f6f4 v[148:151], a[116:119], v[196:199], v[148:151], v35, v23 op_sel_hi:[0,0,0] cbsz:4 blgp:4// 000000006F54: D3AC6800 18022F23 D3AD0C94 8E538974
	buffer_load_dwordx4 a[52:55], v57, s[24:27], 0 offen offset:1024// 000000006F64: E05C1400 80863439
	v_mfma_scale_f32_16x16x128_f8f6f4 v[180:183], a[116:119], v[204:207], v[180:183], v35, v23 op_sel_hi:[0,0,0] cbsz:4 blgp:4// 000000006F6C: D3AC7800 18022F23 D3AD0CB4 8ED39974
	s_waitcnt vmcnt(18)                                        // 000000006F7C: BF8C4F72
	v_mfma_scale_f32_16x16x128_f8f6f4 v[152:155], a[120:123], v[196:199], v[152:155], v36, v23 op_sel_hi:[0,0,0] cbsz:4 blgp:4// 000000006F80: D3AC6000 18022F24 D3AD0C98 8E638978
	buffer_load_dwordx4 a[56:59], v58, s[24:27], 0 offen offset:1024// 000000006F90: E05C1400 8086383A
	v_mfma_scale_f32_16x16x128_f8f6f4 v[184:187], a[120:123], v[204:207], v[184:187], v36, v23 op_sel_hi:[0,0,0] cbsz:4 blgp:4// 000000006F98: D3AC7000 18022F24 D3AD0CB8 8EE39978
	v_mfma_scale_f32_16x16x128_f8f6f4 v[156:159], a[124:127], v[196:199], v[156:159], v36, v23 op_sel_hi:[0,0,0] cbsz:4 blgp:4// 000000006FA8: D3AC6800 18022F24 D3AD0C9C 8E73897C
	buffer_load_dwordx4 a[60:63], v59, s[24:27], 0 offen offset:1024// 000000006FB8: E05C1400 80863C3B
	v_mfma_scale_f32_16x16x128_f8f6f4 v[188:191], a[124:127], v[204:207], v[188:191], v36, v23 op_sel_hi:[0,0,0] cbsz:4 blgp:4// 000000006FC0: D3AC7800 18022F24 D3AD0CBC 8EF3997C
	s_add_u32 s60, 0x200, s80                                  // 000000006FD0: 803C50FF 00000200
	s_cmp_lt_u32 s60, s81                                      // 000000006FD8: BF0A513C
	s_cselect_b32 s57, s57, 0                                  // 000000006FDC: 85398039
	s_cselect_b32 s3, s3, 0                                    // 000000006FE0: 85038003
	s_add_u32 s60, 0x200, s80                                  // 000000006FE4: 803C50FF 00000200
	s_cmp_lt_u32 s60, s81                                      // 000000006FEC: BF0A513C
	s_cselect_b32 s58, s58, 0                                  // 000000006FF0: 853A803A
	s_add_u32 s20, s57, s20                                    // 000000006FF4: 80141439
	s_addc_u32 s21, 0, s21                                     // 000000006FF8: 82151580
	s_add_u32 s28, s3, s28                                     // 000000006FFC: 801C1C03
	s_addc_u32 s29, 0, s29                                     // 000000007000: 821D1D80
	s_add_u32 s24, s58, s24                                    // 000000007004: 8018183A
	s_addc_u32 s25, 0, s25                                     // 000000007008: 82191980
	s_add_u32 s92, s90, s92                                    // 00000000700C: 805C5C5A
	s_addc_u32 s93, 0, s93                                     // 000000007010: 825D5D80
	s_addk_i32 s80, 0x100                                      // 000000007014: B7500100
	s_cmp_lt_i32 s80, s81                                      // 000000007018: BF045150
	s_cbranch_scc0 label_1213                                  // 00000000701C: BF84018B
	s_waitcnt vmcnt(14) lgkmcnt(0)                             // 000000007020: BF8C007E
	s_barrier                                                  // 000000007024: BF8A0000
	v_mfma_scale_f32_16x16x128_f8f6f4 v[64:67], a[0:3], v[208:211], v[64:67], v29, v24 op_sel_hi:[0,0,0] cbsz:4 blgp:4// 000000007028: D3AC6000 0002311D D3AD0C40 8D03A100
	buffer_load_dwordx4 a[64:67], v52, s[92:95], 0 offen       // 000000007038: E05C1000 80974034
	buffer_load_dwordx4 v51, s[20:23], 0 offen lds             // 000000007040: E05D1000 80050033
	s_add_u32 m0, 0, s51                                       // 000000007048: 807C3380
	v_mfma_scale_f32_16x16x128_f8f6f4 v[96:99], a[0:3], v[216:219], v[96:99], v29, v24 op_sel_hi:[0,0,0] cbsz:4 blgp:4// 00000000704C: D3AC7000 0002311D D3AD0C60 8D83B100
	v_mfma_scale_f32_16x16x128_f8f6f4 v[68:71], a[4:7], v[208:211], v[68:71], v29, v24 op_sel_hi:[0,0,0] cbsz:4 blgp:4// 00000000705C: D3AC6800 0002311D D3AD0C44 8D13A104
	buffer_load_dwordx4 a[68:71], v53, s[92:95], 0 offen       // 00000000706C: E05C1000 80974435
	buffer_load_dword v23, v12, s[28:31], 0 offen              // 000000007074: E0501000 8007170C
	buffer_load_dword v37, v19, s[32:35], 0 offen              // 00000000707C: E0501000 80082513
	buffer_load_dword v38, v20, s[32:35], 0 offen              // 000000007084: E0501000 80082614
	buffer_load_dword v39, v21, s[32:35], 0 offen              // 00000000708C: E0501000 80082715
	buffer_load_dword v40, v22, s[32:35], 0 offen              // 000000007094: E0501000 80082816
	v_mfma_scale_f32_16x16x128_f8f6f4 v[100:103], a[4:7], v[216:219], v[100:103], v29, v24 op_sel_hi:[0,0,0] cbsz:4 blgp:4// 00000000709C: D3AC7800 0002311D D3AD0C64 8D93B104
	s_waitcnt vmcnt(20)                                        // 0000000070AC: BF8C4F74
	v_mfma_scale_f32_16x16x128_f8f6f4 v[72:75], a[8:11], v[208:211], v[72:75], v30, v24 op_sel_hi:[0,0,0] cbsz:4 blgp:4// 0000000070B0: D3AC6000 0002311E D3AD0C48 8D23A108
	buffer_load_dwordx4 a[72:75], v54, s[92:95], 0 offen       // 0000000070C0: E05C1000 80974836
	v_mfma_scale_f32_16x16x128_f8f6f4 v[104:107], a[8:11], v[216:219], v[104:107], v30, v24 op_sel_hi:[0,0,0] cbsz:4 blgp:4// 0000000070C8: D3AC7000 0002311E D3AD0C68 8DA3B108
	v_mfma_scale_f32_16x16x128_f8f6f4 v[76:79], a[12:15], v[208:211], v[76:79], v30, v24 op_sel_hi:[0,0,0] cbsz:4 blgp:4// 0000000070D8: D3AC6800 0002311E D3AD0C4C 8D33A10C
	buffer_load_dwordx4 a[76:79], v55, s[92:95], 0 offen       // 0000000070E8: E05C1000 80974C37
	v_mfma_scale_f32_16x16x128_f8f6f4 v[108:111], a[12:15], v[216:219], v[108:111], v30, v24 op_sel_hi:[0,0,0] cbsz:4 blgp:4// 0000000070F0: D3AC7800 0002311E D3AD0C6C 8DB3B10C
	s_waitcnt vmcnt(20)                                        // 000000007100: BF8C4F74
	v_mfma_scale_f32_16x16x128_f8f6f4 v[80:83], a[16:19], v[208:211], v[80:83], v31, v24 op_sel_hi:[0,0,0] cbsz:4 blgp:4// 000000007104: D3AC6000 0002311F D3AD0C50 8D43A110
	buffer_load_dwordx4 a[80:83], v56, s[92:95], 0 offen       // 000000007114: E05C1000 80975038
	v_mfma_scale_f32_16x16x128_f8f6f4 v[112:115], a[16:19], v[216:219], v[112:115], v31, v24 op_sel_hi:[0,0,0] cbsz:4 blgp:4// 00000000711C: D3AC7000 0002311F D3AD0C70 8DC3B110
	v_mfma_scale_f32_16x16x128_f8f6f4 v[84:87], a[20:23], v[208:211], v[84:87], v31, v24 op_sel_hi:[0,0,0] cbsz:4 blgp:4// 00000000712C: D3AC6800 0002311F D3AD0C54 8D53A114
	buffer_load_dwordx4 a[84:87], v57, s[92:95], 0 offen       // 00000000713C: E05C1000 80975439
	v_mfma_scale_f32_16x16x128_f8f6f4 v[116:119], a[20:23], v[216:219], v[116:119], v31, v24 op_sel_hi:[0,0,0] cbsz:4 blgp:4// 000000007144: D3AC7800 0002311F D3AD0C74 8DD3B114
	s_waitcnt vmcnt(20)                                        // 000000007154: BF8C4F74
	v_mfma_scale_f32_16x16x128_f8f6f4 v[88:91], a[24:27], v[208:211], v[88:91], v32, v24 op_sel_hi:[0,0,0] cbsz:4 blgp:4// 000000007158: D3AC6000 00023120 D3AD0C58 8D63A118
	buffer_load_dwordx4 a[88:91], v58, s[92:95], 0 offen       // 000000007168: E05C1000 8097583A
	v_mfma_scale_f32_16x16x128_f8f6f4 v[120:123], a[24:27], v[216:219], v[120:123], v32, v24 op_sel_hi:[0,0,0] cbsz:4 blgp:4// 000000007170: D3AC7000 00023120 D3AD0C78 8DE3B118
	v_mfma_scale_f32_16x16x128_f8f6f4 v[92:95], a[28:31], v[208:211], v[92:95], v32, v24 op_sel_hi:[0,0,0] cbsz:4 blgp:4// 000000007180: D3AC6800 00023120 D3AD0C5C 8D73A11C
	buffer_load_dwordx4 a[92:95], v59, s[92:95], 0 offen       // 000000007190: E05C1000 80975C3B
	v_mfma_scale_f32_16x16x128_f8f6f4 v[124:127], a[28:31], v[216:219], v[124:127], v32, v24 op_sel_hi:[0,0,0] cbsz:4 blgp:4// 000000007198: D3AC7800 00023120 D3AD0C7C 8DF3B11C
	s_nop 0                                                    // 0000000071A8: BF800000
	s_waitcnt vmcnt(20)                                        // 0000000071AC: BF8C4F74
	v_mfma_scale_f32_16x16x128_f8f6f4 v[64:67], a[32:35], v[212:215], v[64:67], v29, v24 op_sel_hi:[0,0,0] cbsz:4 blgp:4// 0000000071B0: D3AC6000 1802311D D3AD0C40 8D03A920
	buffer_load_dwordx4 a[96:99], v52, s[92:95], 0 offen offset:1024// 0000000071C0: E05C1400 80976034
	v_mfma_scale_f32_16x16x128_f8f6f4 v[96:99], a[32:35], v[220:223], v[96:99], v29, v24 op_sel_hi:[0,0,0] cbsz:4 blgp:4// 0000000071C8: D3AC7000 1802311D D3AD0C60 8D83B920
	v_mfma_scale_f32_16x16x128_f8f6f4 v[68:71], a[36:39], v[212:215], v[68:71], v29, v24 op_sel_hi:[0,0,0] cbsz:4 blgp:4// 0000000071D8: D3AC6800 1802311D D3AD0C44 8D13A924
	buffer_load_dwordx4 a[100:103], v53, s[92:95], 0 offen offset:1024// 0000000071E8: E05C1400 80976435
	v_mfma_scale_f32_16x16x128_f8f6f4 v[100:103], a[36:39], v[220:223], v[100:103], v29, v24 op_sel_hi:[0,0,0] cbsz:4 blgp:4// 0000000071F0: D3AC7800 1802311D D3AD0C64 8D93B924
	s_waitcnt vmcnt(20)                                        // 000000007200: BF8C4F74
	v_mfma_scale_f32_16x16x128_f8f6f4 v[72:75], a[40:43], v[212:215], v[72:75], v30, v24 op_sel_hi:[0,0,0] cbsz:4 blgp:4// 000000007204: D3AC6000 1802311E D3AD0C48 8D23A928
	buffer_load_dwordx4 a[104:107], v54, s[92:95], 0 offen offset:1024// 000000007214: E05C1400 80976836
	v_mfma_scale_f32_16x16x128_f8f6f4 v[104:107], a[40:43], v[220:223], v[104:107], v30, v24 op_sel_hi:[0,0,0] cbsz:4 blgp:4// 00000000721C: D3AC7000 1802311E D3AD0C68 8DA3B928
	v_mfma_scale_f32_16x16x128_f8f6f4 v[76:79], a[44:47], v[212:215], v[76:79], v30, v24 op_sel_hi:[0,0,0] cbsz:4 blgp:4// 00000000722C: D3AC6800 1802311E D3AD0C4C 8D33A92C
	buffer_load_dwordx4 a[108:111], v55, s[92:95], 0 offen offset:1024// 00000000723C: E05C1400 80976C37
	v_mfma_scale_f32_16x16x128_f8f6f4 v[108:111], a[44:47], v[220:223], v[108:111], v30, v24 op_sel_hi:[0,0,0] cbsz:4 blgp:4// 000000007244: D3AC7800 1802311E D3AD0C6C 8DB3B92C
	s_waitcnt vmcnt(20)                                        // 000000007254: BF8C4F74
	v_mfma_scale_f32_16x16x128_f8f6f4 v[80:83], a[48:51], v[212:215], v[80:83], v31, v24 op_sel_hi:[0,0,0] cbsz:4 blgp:4// 000000007258: D3AC6000 1802311F D3AD0C50 8D43A930
	buffer_load_dwordx4 a[112:115], v56, s[92:95], 0 offen offset:1024// 000000007268: E05C1400 80977038
	v_mfma_scale_f32_16x16x128_f8f6f4 v[112:115], a[48:51], v[220:223], v[112:115], v31, v24 op_sel_hi:[0,0,0] cbsz:4 blgp:4// 000000007270: D3AC7000 1802311F D3AD0C70 8DC3B930
	v_mfma_scale_f32_16x16x128_f8f6f4 v[84:87], a[52:55], v[212:215], v[84:87], v31, v24 op_sel_hi:[0,0,0] cbsz:4 blgp:4// 000000007280: D3AC6800 1802311F D3AD0C54 8D53A934
	buffer_load_dwordx4 a[116:119], v57, s[92:95], 0 offen offset:1024// 000000007290: E05C1400 80977439
	v_mfma_scale_f32_16x16x128_f8f6f4 v[116:119], a[52:55], v[220:223], v[116:119], v31, v24 op_sel_hi:[0,0,0] cbsz:4 blgp:4// 000000007298: D3AC7800 1802311F D3AD0C74 8DD3B934
	s_waitcnt vmcnt(20)                                        // 0000000072A8: BF8C4F74
	v_mfma_scale_f32_16x16x128_f8f6f4 v[88:91], a[56:59], v[212:215], v[88:91], v32, v24 op_sel_hi:[0,0,0] cbsz:4 blgp:4// 0000000072AC: D3AC6000 18023120 D3AD0C58 8D63A938
	buffer_load_dwordx4 a[120:123], v58, s[92:95], 0 offen offset:1024// 0000000072BC: E05C1400 8097783A
	v_mfma_scale_f32_16x16x128_f8f6f4 v[120:123], a[56:59], v[220:223], v[120:123], v32, v24 op_sel_hi:[0,0,0] cbsz:4 blgp:4// 0000000072C4: D3AC7000 18023120 D3AD0C78 8DE3B938
	v_mfma_scale_f32_16x16x128_f8f6f4 v[92:95], a[60:63], v[212:215], v[92:95], v32, v24 op_sel_hi:[0,0,0] cbsz:4 blgp:4// 0000000072D4: D3AC6800 18023120 D3AD0C5C 8D73A93C
	buffer_load_dwordx4 a[124:127], v59, s[92:95], 0 offen offset:1024// 0000000072E4: E05C1400 80977C3B
	v_mfma_scale_f32_16x16x128_f8f6f4 v[124:127], a[60:63], v[220:223], v[124:127], v32, v24 op_sel_hi:[0,0,0] cbsz:4 blgp:4// 0000000072EC: D3AC7800 18023120 D3AD0C7C 8DF3B93C
	s_add_u32 s60, 0x100, s80                                  // 0000000072FC: 803C50FF 00000100
	s_cmp_lt_u32 s60, s81                                      // 000000007304: BF0A513C
	s_cselect_b32 s4, s4, 0                                    // 000000007308: 85048004
	s_add_u32 s32, s4, s32                                     // 00000000730C: 80202004
	s_addc_u32 s33, 0, s33                                     // 000000007310: 82212180
	s_waitcnt vmcnt(14)                                        // 000000007314: BF8C0F7E
	s_barrier                                                  // 000000007318: BF8A0000
	v_mfma_scale_f32_16x16x128_f8f6f4 v[128:131], a[64:67], v[208:211], v[128:131], v37, v24 op_sel_hi:[0,0,0] cbsz:4 blgp:4// 00000000731C: D3AC6000 00023125 D3AD0C80 8E03A140
	buffer_load_dwordx4 a[0:3], v52, s[24:27], 0 offen         // 00000000732C: E05C1000 80860034
	buffer_load_dword v25, v15, s[32:35], 0 offen              // 000000007334: E0501000 8008190F
	buffer_load_dword v26, v16, s[32:35], 0 offen              // 00000000733C: E0501000 80081A10
	v_mfma_scale_f32_16x16x128_f8f6f4 v[160:163], a[64:67], v[216:219], v[160:163], v37, v24 op_sel_hi:[0,0,0] cbsz:4 blgp:4// 000000007344: D3AC7000 00023125 D3AD0CA0 8E83B140
	v_mfma_scale_f32_16x16x128_f8f6f4 v[132:135], a[68:71], v[208:211], v[132:135], v37, v24 op_sel_hi:[0,0,0] cbsz:4 blgp:4// 000000007354: D3AC6800 00023125 D3AD0C84 8E13A144
	buffer_load_dwordx4 a[4:7], v53, s[24:27], 0 offen         // 000000007364: E05C1000 80860435
	buffer_load_dword v27, v17, s[32:35], 0 offen              // 00000000736C: E0501000 80081B11
	buffer_load_dword v28, v18, s[32:35], 0 offen              // 000000007374: E0501000 80081C12
	v_mfma_scale_f32_16x16x128_f8f6f4 v[164:167], a[68:71], v[216:219], v[164:167], v37, v24 op_sel_hi:[0,0,0] cbsz:4 blgp:4// 00000000737C: D3AC7800 00023125 D3AD0CA4 8E93B144
	s_waitcnt vmcnt(18)                                        // 00000000738C: BF8C4F72
	v_mfma_scale_f32_16x16x128_f8f6f4 v[136:139], a[72:75], v[208:211], v[136:139], v38, v24 op_sel_hi:[0,0,0] cbsz:4 blgp:4// 000000007390: D3AC6000 00023126 D3AD0C88 8E23A148
	buffer_load_dwordx4 a[8:11], v54, s[24:27], 0 offen        // 0000000073A0: E05C1000 80860836
	v_mfma_scale_f32_16x16x128_f8f6f4 v[168:171], a[72:75], v[216:219], v[168:171], v38, v24 op_sel_hi:[0,0,0] cbsz:4 blgp:4// 0000000073A8: D3AC7000 00023126 D3AD0CA8 8EA3B148
	v_mfma_scale_f32_16x16x128_f8f6f4 v[140:143], a[76:79], v[208:211], v[140:143], v38, v24 op_sel_hi:[0,0,0] cbsz:4 blgp:4// 0000000073B8: D3AC6800 00023126 D3AD0C8C 8E33A14C
	buffer_load_dwordx4 a[12:15], v55, s[24:27], 0 offen       // 0000000073C8: E05C1000 80860C37
	v_mfma_scale_f32_16x16x128_f8f6f4 v[172:175], a[76:79], v[216:219], v[172:175], v38, v24 op_sel_hi:[0,0,0] cbsz:4 blgp:4// 0000000073D0: D3AC7800 00023126 D3AD0CAC 8EB3B14C
	s_waitcnt vmcnt(18)                                        // 0000000073E0: BF8C4F72
	v_mfma_scale_f32_16x16x128_f8f6f4 v[144:147], a[80:83], v[208:211], v[144:147], v39, v24 op_sel_hi:[0,0,0] cbsz:4 blgp:4// 0000000073E4: D3AC6000 00023127 D3AD0C90 8E43A150
	buffer_load_dwordx4 a[16:19], v56, s[24:27], 0 offen       // 0000000073F4: E05C1000 80861038
	v_mfma_scale_f32_16x16x128_f8f6f4 v[176:179], a[80:83], v[216:219], v[176:179], v39, v24 op_sel_hi:[0,0,0] cbsz:4 blgp:4// 0000000073FC: D3AC7000 00023127 D3AD0CB0 8EC3B150
	v_mfma_scale_f32_16x16x128_f8f6f4 v[148:151], a[84:87], v[208:211], v[148:151], v39, v24 op_sel_hi:[0,0,0] cbsz:4 blgp:4// 00000000740C: D3AC6800 00023127 D3AD0C94 8E53A154
	buffer_load_dwordx4 a[20:23], v57, s[24:27], 0 offen       // 00000000741C: E05C1000 80861439
	v_mfma_scale_f32_16x16x128_f8f6f4 v[180:183], a[84:87], v[216:219], v[180:183], v39, v24 op_sel_hi:[0,0,0] cbsz:4 blgp:4// 000000007424: D3AC7800 00023127 D3AD0CB4 8ED3B154
	s_waitcnt vmcnt(18)                                        // 000000007434: BF8C4F72
	v_mfma_scale_f32_16x16x128_f8f6f4 v[152:155], a[88:91], v[208:211], v[152:155], v40, v24 op_sel_hi:[0,0,0] cbsz:4 blgp:4// 000000007438: D3AC6000 00023128 D3AD0C98 8E63A158
	buffer_load_dwordx4 a[24:27], v58, s[24:27], 0 offen       // 000000007448: E05C1000 8086183A
	v_mfma_scale_f32_16x16x128_f8f6f4 v[184:187], a[88:91], v[216:219], v[184:187], v40, v24 op_sel_hi:[0,0,0] cbsz:4 blgp:4// 000000007450: D3AC7000 00023128 D3AD0CB8 8EE3B158
	v_mfma_scale_f32_16x16x128_f8f6f4 v[156:159], a[92:95], v[208:211], v[156:159], v40, v24 op_sel_hi:[0,0,0] cbsz:4 blgp:4// 000000007460: D3AC6800 00023128 D3AD0C9C 8E73A15C
	buffer_load_dwordx4 a[28:31], v59, s[24:27], 0 offen       // 000000007470: E05C1000 80861C3B
	v_mfma_scale_f32_16x16x128_f8f6f4 v[188:191], a[92:95], v[216:219], v[188:191], v40, v24 op_sel_hi:[0,0,0] cbsz:4 blgp:4// 000000007478: D3AC7800 00023128 D3AD0CBC 8EF3B15C
	s_waitcnt vmcnt(18)                                        // 000000007488: BF8C4F72
	v_mfma_scale_f32_16x16x128_f8f6f4 v[128:131], a[96:99], v[212:215], v[128:131], v37, v24 op_sel_hi:[0,0,0] cbsz:4 blgp:4// 00000000748C: D3AC6000 18023125 D3AD0C80 8E03A960
	buffer_load_dwordx4 a[32:35], v52, s[24:27], 0 offen offset:1024// 00000000749C: E05C1400 80862034
	v_mfma_scale_f32_16x16x128_f8f6f4 v[160:163], a[96:99], v[220:223], v[160:163], v37, v24 op_sel_hi:[0,0,0] cbsz:4 blgp:4// 0000000074A4: D3AC7000 18023125 D3AD0CA0 8E83B960
	ds_read_b128 v[192:195], v6                                // 0000000074B4: D9FE0000 C0000006
	ds_read_b128 v[196:199], v6 offset:64                      // 0000000074BC: D9FE0040 C4000006
	v_mfma_scale_f32_16x16x128_f8f6f4 v[132:135], a[100:103], v[212:215], v[132:135], v37, v24 op_sel_hi:[0,0,0] cbsz:4 blgp:4// 0000000074C4: D3AC6800 18023125 D3AD0C84 8E13A964
	buffer_load_dwordx4 a[36:39], v53, s[24:27], 0 offen offset:1024// 0000000074D4: E05C1400 80862435
	v_mfma_scale_f32_16x16x128_f8f6f4 v[164:167], a[100:103], v[220:223], v[164:167], v37, v24 op_sel_hi:[0,0,0] cbsz:4 blgp:4// 0000000074DC: D3AC7800 18023125 D3AD0CA4 8E93B964
	ds_read_b128 v[200:203], v6 offset:512                     // 0000000074EC: D9FE0200 C8000006
	ds_read_b128 v[204:207], v6 offset:576                     // 0000000074F4: D9FE0240 CC000006
	s_waitcnt vmcnt(18)                                        // 0000000074FC: BF8C4F72
	v_mfma_scale_f32_16x16x128_f8f6f4 v[136:139], a[104:107], v[212:215], v[136:139], v38, v24 op_sel_hi:[0,0,0] cbsz:4 blgp:4// 000000007500: D3AC6000 18023126 D3AD0C88 8E23A968
	buffer_load_dwordx4 a[40:43], v54, s[24:27], 0 offen offset:1024// 000000007510: E05C1400 80862836
	v_mfma_scale_f32_16x16x128_f8f6f4 v[168:171], a[104:107], v[220:223], v[168:171], v38, v24 op_sel_hi:[0,0,0] cbsz:4 blgp:4// 000000007518: D3AC7000 18023126 D3AD0CA8 8EA3B968
	v_mfma_scale_f32_16x16x128_f8f6f4 v[140:143], a[108:111], v[212:215], v[140:143], v38, v24 op_sel_hi:[0,0,0] cbsz:4 blgp:4// 000000007528: D3AC6800 18023126 D3AD0C8C 8E33A96C
	buffer_load_dwordx4 a[44:47], v55, s[24:27], 0 offen offset:1024// 000000007538: E05C1400 80862C37
	v_mfma_scale_f32_16x16x128_f8f6f4 v[172:175], a[108:111], v[220:223], v[172:175], v38, v24 op_sel_hi:[0,0,0] cbsz:4 blgp:4// 000000007540: D3AC7800 18023126 D3AD0CAC 8EB3B96C
	s_waitcnt vmcnt(18)                                        // 000000007550: BF8C4F72
	v_mfma_scale_f32_16x16x128_f8f6f4 v[144:147], a[112:115], v[212:215], v[144:147], v39, v24 op_sel_hi:[0,0,0] cbsz:4 blgp:4// 000000007554: D3AC6000 18023127 D3AD0C90 8E43A970
	buffer_load_dwordx4 a[48:51], v56, s[24:27], 0 offen offset:1024// 000000007564: E05C1400 80863038
	v_mfma_scale_f32_16x16x128_f8f6f4 v[176:179], a[112:115], v[220:223], v[176:179], v39, v24 op_sel_hi:[0,0,0] cbsz:4 blgp:4// 00000000756C: D3AC7000 18023127 D3AD0CB0 8EC3B970
	v_mfma_scale_f32_16x16x128_f8f6f4 v[148:151], a[116:119], v[212:215], v[148:151], v39, v24 op_sel_hi:[0,0,0] cbsz:4 blgp:4// 00000000757C: D3AC6800 18023127 D3AD0C94 8E53A974
	buffer_load_dwordx4 a[52:55], v57, s[24:27], 0 offen offset:1024// 00000000758C: E05C1400 80863439
	v_mfma_scale_f32_16x16x128_f8f6f4 v[180:183], a[116:119], v[220:223], v[180:183], v39, v24 op_sel_hi:[0,0,0] cbsz:4 blgp:4// 000000007594: D3AC7800 18023127 D3AD0CB4 8ED3B974
	s_waitcnt vmcnt(18)                                        // 0000000075A4: BF8C4F72
	v_mfma_scale_f32_16x16x128_f8f6f4 v[152:155], a[120:123], v[212:215], v[152:155], v40, v24 op_sel_hi:[0,0,0] cbsz:4 blgp:4// 0000000075A8: D3AC6000 18023128 D3AD0C98 8E63A978
	buffer_load_dwordx4 a[56:59], v58, s[24:27], 0 offen offset:1024// 0000000075B8: E05C1400 8086383A
	v_mfma_scale_f32_16x16x128_f8f6f4 v[184:187], a[120:123], v[220:223], v[184:187], v40, v24 op_sel_hi:[0,0,0] cbsz:4 blgp:4// 0000000075C0: D3AC7000 18023128 D3AD0CB8 8EE3B978
	v_mfma_scale_f32_16x16x128_f8f6f4 v[156:159], a[124:127], v[212:215], v[156:159], v40, v24 op_sel_hi:[0,0,0] cbsz:4 blgp:4// 0000000075D0: D3AC6800 18023128 D3AD0C9C 8E73A97C
	buffer_load_dwordx4 a[60:63], v59, s[24:27], 0 offen offset:1024// 0000000075E0: E05C1400 80863C3B
	v_mfma_scale_f32_16x16x128_f8f6f4 v[188:191], a[124:127], v[220:223], v[188:191], v40, v24 op_sel_hi:[0,0,0] cbsz:4 blgp:4// 0000000075E8: D3AC7800 18023128 D3AD0CBC 8EF3B97C
	s_add_u32 s60, 0x200, s80                                  // 0000000075F8: 803C50FF 00000200
	s_cmp_lt_u32 s60, s81                                      // 000000007600: BF0A513C
	s_cselect_b32 s57, s57, 0                                  // 000000007604: 85398039
	s_cselect_b32 s3, s3, 0                                    // 000000007608: 85038003
	s_add_u32 s60, 0x200, s80                                  // 00000000760C: 803C50FF 00000200
	s_cmp_lt_u32 s60, s81                                      // 000000007614: BF0A513C
	s_cselect_b32 s58, s58, 0                                  // 000000007618: 853A803A
	s_add_u32 s20, s57, s20                                    // 00000000761C: 80141439
	s_addc_u32 s21, 0, s21                                     // 000000007620: 82151580
	s_add_u32 s28, s3, s28                                     // 000000007624: 801C1C03
	s_addc_u32 s29, 0, s29                                     // 000000007628: 821D1D80
	s_add_u32 s24, s58, s24                                    // 00000000762C: 8018183A
	s_addc_u32 s25, 0, s25                                     // 000000007630: 82191980
	s_add_u32 s92, s90, s92                                    // 000000007634: 805C5C5A
	s_addc_u32 s93, 0, s93                                     // 000000007638: 825D5D80
	s_addk_i32 s80, 0x100                                      // 00000000763C: B7500100
	s_cmp_lt_i32 s80, s81                                      // 000000007640: BF045150
	s_cbranch_scc0 label_1213                                  // 000000007644: BF840001
	s_branch label_0EFE                                        // 000000007648: BF82FCEB

000000000000764c <label_1213>:
	s_mov_b32 s20, 0                                           // 00000000764C: BE940080
	s_cmp_lt_u32 s89, s66                                      // 000000007650: BF0A4259
	s_cselect_b32 s60, 0, 1                                    // 000000007654: 853C8180
	s_lshl1_add_u32 s20, s20, s60                              // 000000007658: 97143C14
	s_cmp_lt_u32 s88, s66                                      // 00000000765C: BF0A4258
	s_cselect_b32 s60, 0, 1                                    // 000000007660: 853C8180
	s_lshl1_add_u32 s20, s20, s60                              // 000000007664: 97143C14
	s_cmp_lt_u32 s87, s66                                      // 000000007668: BF0A4257
	s_cselect_b32 s60, 0, 1                                    // 00000000766C: 853C8180
	s_lshl1_add_u32 s20, s20, s60                              // 000000007670: 97143C14
	s_cmp_lt_u32 s86, s66                                      // 000000007674: BF0A4256
	s_cselect_b32 s60, 0, 1                                    // 000000007678: 853C8180
	s_lshl1_add_u32 s20, s20, s60                              // 00000000767C: 97143C14
	s_cmp_lt_u32 s85, s66                                      // 000000007680: BF0A4255
	s_cselect_b32 s60, 0, 1                                    // 000000007684: 853C8180
	s_lshl1_add_u32 s20, s20, s60                              // 000000007688: 97143C14
	s_cmp_lt_u32 s84, s66                                      // 00000000768C: BF0A4254
	s_cselect_b32 s60, 0, 1                                    // 000000007690: 853C8180
	s_lshl1_add_u32 s20, s20, s60                              // 000000007694: 97143C14
	s_cmp_lt_u32 s83, s66                                      // 000000007698: BF0A4253
	s_cselect_b32 s60, 0, 1                                    // 00000000769C: 853C8180
	s_lshl1_add_u32 s20, s20, s60                              // 0000000076A0: 97143C14
	s_cmp_lt_u32 s82, s66                                      // 0000000076A4: BF0A4252
	s_cselect_b32 s60, 0, 1                                    // 0000000076A8: 853C8180
	s_lshl1_add_u32 s20, s20, s60                              // 0000000076AC: 97143C14
	v_mov_b32_e32 v1, 0xbfcc4231                               // 0000000076B0: 7E0202FF BFCC4231
	s_waitcnt vmcnt(14)                                        // 0000000076B8: BF8C0F7E
	buffer_load_dwordx4 a[0:3], v60, s[12:15], 0 offen         // 0000000076BC: E05C1000 8083003C
	v_mul_f32_e32 v2, v64, v64                                 // 0000000076C4: 0A048140
	v_mul_f32_e32 v3, v65, v65                                 // 0000000076C8: 0A068341
	v_mul_f32_e32 v4, v66, v66                                 // 0000000076CC: 0A088542
	v_mul_f32_e32 v5, v67, v67                                 // 0000000076D0: 0A0A8743
	v_fma_f32 v2, v2, s77, v1                                  // 0000000076D4: D1CB0002 04049B02
	v_fma_f32 v3, v3, s77, v1                                  // 0000000076DC: D1CB0003 04049B03
	v_fma_f32 v4, v4, s77, v1                                  // 0000000076E4: D1CB0004 04049B04
	v_fma_f32 v5, v5, s77, v1                                  // 0000000076EC: D1CB0005 04049B05
	v_mul_f32_e32 v2, v2, v64                                  // 0000000076F4: 0A048102
	v_mul_f32_e32 v3, v3, v65                                  // 0000000076F8: 0A068303
	v_mul_f32_e32 v4, v4, v66                                  // 0000000076FC: 0A088504
	v_mul_f32_e32 v5, v5, v67                                  // 000000007700: 0A0A8705
	v_mul_f32_e64 v2, v2, s6                                   // 000000007704: D1050002 00000D02
	v_mul_f32_e64 v3, v3, s6                                   // 00000000770C: D1050003 00000D03
	v_mul_f32_e64 v4, v4, s6                                   // 000000007714: D1050004 00000D04
	v_mul_f32_e64 v5, v5, s6                                   // 00000000771C: D1050005 00000D05
	v_exp_f32_e32 v2, v2                                       // 000000007724: 7E044102
	v_exp_f32_e32 v3, v3                                       // 000000007728: 7E064103
	v_exp_f32_e32 v4, v4                                       // 00000000772C: 7E084104
	v_exp_f32_e32 v5, v5                                       // 000000007730: 7E0A4105
	buffer_load_dwordx4 a[4:7], v61, s[12:15], 0 offen         // 000000007734: E05C1000 8083043D
	v_add_f32_e64 v2, v2, 1.0                                  // 00000000773C: D1010002 0001E502
	v_add_f32_e64 v3, v3, 1.0                                  // 000000007744: D1010003 0001E503
	v_add_f32_e64 v4, v4, 1.0                                  // 00000000774C: D1010004 0001E504
	v_add_f32_e64 v5, v5, 1.0                                  // 000000007754: D1010005 0001E505
	v_rcp_f32_e32 v2, v2                                       // 00000000775C: 7E044502
	v_rcp_f32_e32 v3, v3                                       // 000000007760: 7E064503
	v_rcp_f32_e32 v4, v4                                       // 000000007764: 7E084504
	v_rcp_f32_e32 v5, v5                                       // 000000007768: 7E0A4505
	v_mul_f32_e32 v64, v64, v2                                 // 00000000776C: 0A800540
	v_mul_f32_e32 v65, v65, v3                                 // 000000007770: 0A820741
	v_mul_f32_e32 v66, v66, v4                                 // 000000007774: 0A840942
	v_mul_f32_e32 v67, v67, v5                                 // 000000007778: 0A860B43
	v_mul_f32_e32 v64, v64, v128                               // 00000000777C: 0A810140
	v_mul_f32_e32 v65, v65, v129                               // 000000007780: 0A830341
	v_mul_f32_e32 v66, v66, v130                               // 000000007784: 0A850542
	v_mul_f32_e32 v67, v67, v131                               // 000000007788: 0A870743
	s_waitcnt vmcnt(14)                                        // 00000000778C: BF8C0F7E
	buffer_load_dwordx4 a[8:11], v62, s[12:15], 0 offen        // 000000007790: E05C1000 8083083E
	v_mul_f32_e32 v2, v68, v68                                 // 000000007798: 0A048944
	v_mul_f32_e32 v3, v69, v69                                 // 00000000779C: 0A068B45
	v_mul_f32_e32 v4, v70, v70                                 // 0000000077A0: 0A088D46
	v_mul_f32_e32 v5, v71, v71                                 // 0000000077A4: 0A0A8F47
	v_fma_f32 v2, v2, s77, v1                                  // 0000000077A8: D1CB0002 04049B02
	v_fma_f32 v3, v3, s77, v1                                  // 0000000077B0: D1CB0003 04049B03
	v_fma_f32 v4, v4, s77, v1                                  // 0000000077B8: D1CB0004 04049B04
	v_fma_f32 v5, v5, s77, v1                                  // 0000000077C0: D1CB0005 04049B05
	v_mul_f32_e32 v2, v2, v68                                  // 0000000077C8: 0A048902
	v_mul_f32_e32 v3, v3, v69                                  // 0000000077CC: 0A068B03
	v_mul_f32_e32 v4, v4, v70                                  // 0000000077D0: 0A088D04
	v_mul_f32_e32 v5, v5, v71                                  // 0000000077D4: 0A0A8F05
	v_mul_f32_e64 v2, v2, s6                                   // 0000000077D8: D1050002 00000D02
	v_mul_f32_e64 v3, v3, s6                                   // 0000000077E0: D1050003 00000D03
	v_mul_f32_e64 v4, v4, s6                                   // 0000000077E8: D1050004 00000D04
	v_mul_f32_e64 v5, v5, s6                                   // 0000000077F0: D1050005 00000D05
	v_exp_f32_e32 v2, v2                                       // 0000000077F8: 7E044102
	v_exp_f32_e32 v3, v3                                       // 0000000077FC: 7E064103
	v_exp_f32_e32 v4, v4                                       // 000000007800: 7E084104
	v_exp_f32_e32 v5, v5                                       // 000000007804: 7E0A4105
	buffer_load_dwordx4 a[12:15], v63, s[12:15], 0 offen       // 000000007808: E05C1000 80830C3F
	v_add_f32_e64 v2, v2, 1.0                                  // 000000007810: D1010002 0001E502
	v_add_f32_e64 v3, v3, 1.0                                  // 000000007818: D1010003 0001E503
	v_add_f32_e64 v4, v4, 1.0                                  // 000000007820: D1010004 0001E504
	v_add_f32_e64 v5, v5, 1.0                                  // 000000007828: D1010005 0001E505
	v_rcp_f32_e32 v2, v2                                       // 000000007830: 7E044502
	v_rcp_f32_e32 v3, v3                                       // 000000007834: 7E064503
	v_rcp_f32_e32 v4, v4                                       // 000000007838: 7E084504
	v_rcp_f32_e32 v5, v5                                       // 00000000783C: 7E0A4505
	v_mul_f32_e32 v68, v68, v2                                 // 000000007840: 0A880544
	v_mul_f32_e32 v69, v69, v3                                 // 000000007844: 0A8A0745
	v_mul_f32_e32 v70, v70, v4                                 // 000000007848: 0A8C0946
	v_mul_f32_e32 v71, v71, v5                                 // 00000000784C: 0A8E0B47
	v_mul_f32_e32 v68, v68, v132                               // 000000007850: 0A890944
	v_mul_f32_e32 v69, v69, v133                               // 000000007854: 0A8B0B45
	v_mul_f32_e32 v70, v70, v134                               // 000000007858: 0A8D0D46
	v_mul_f32_e32 v71, v71, v135                               // 00000000785C: 0A8F0F47
	s_waitcnt vmcnt(14)                                        // 000000007860: BF8C0F7E
	buffer_load_dwordx4 a[16:19], v60, s[12:15], 0 offen offset:1024// 000000007864: E05C1400 8083103C
	v_mul_f32_e32 v2, v72, v72                                 // 00000000786C: 0A049148
	v_mul_f32_e32 v3, v73, v73                                 // 000000007870: 0A069349
	v_mul_f32_e32 v4, v74, v74                                 // 000000007874: 0A08954A
	v_mul_f32_e32 v5, v75, v75                                 // 000000007878: 0A0A974B
	v_fma_f32 v2, v2, s77, v1                                  // 00000000787C: D1CB0002 04049B02
	v_fma_f32 v3, v3, s77, v1                                  // 000000007884: D1CB0003 04049B03
	v_fma_f32 v4, v4, s77, v1                                  // 00000000788C: D1CB0004 04049B04
	v_fma_f32 v5, v5, s77, v1                                  // 000000007894: D1CB0005 04049B05
	v_mul_f32_e32 v2, v2, v72                                  // 00000000789C: 0A049102
	v_mul_f32_e32 v3, v3, v73                                  // 0000000078A0: 0A069303
	v_mul_f32_e32 v4, v4, v74                                  // 0000000078A4: 0A089504
	v_mul_f32_e32 v5, v5, v75                                  // 0000000078A8: 0A0A9705
	v_mul_f32_e64 v2, v2, s6                                   // 0000000078AC: D1050002 00000D02
	v_mul_f32_e64 v3, v3, s6                                   // 0000000078B4: D1050003 00000D03
	v_mul_f32_e64 v4, v4, s6                                   // 0000000078BC: D1050004 00000D04
	v_mul_f32_e64 v5, v5, s6                                   // 0000000078C4: D1050005 00000D05
	v_exp_f32_e32 v2, v2                                       // 0000000078CC: 7E044102
	v_exp_f32_e32 v3, v3                                       // 0000000078D0: 7E064103
	v_exp_f32_e32 v4, v4                                       // 0000000078D4: 7E084104
	v_exp_f32_e32 v5, v5                                       // 0000000078D8: 7E0A4105
	buffer_load_dwordx4 a[20:23], v61, s[12:15], 0 offen offset:1024// 0000000078DC: E05C1400 8083143D
	v_add_f32_e64 v2, v2, 1.0                                  // 0000000078E4: D1010002 0001E502
	v_add_f32_e64 v3, v3, 1.0                                  // 0000000078EC: D1010003 0001E503
	v_add_f32_e64 v4, v4, 1.0                                  // 0000000078F4: D1010004 0001E504
	v_add_f32_e64 v5, v5, 1.0                                  // 0000000078FC: D1010005 0001E505
	v_rcp_f32_e32 v2, v2                                       // 000000007904: 7E044502
	v_rcp_f32_e32 v3, v3                                       // 000000007908: 7E064503
	v_rcp_f32_e32 v4, v4                                       // 00000000790C: 7E084504
	v_rcp_f32_e32 v5, v5                                       // 000000007910: 7E0A4505
	v_mul_f32_e32 v72, v72, v2                                 // 000000007914: 0A900548
	v_mul_f32_e32 v73, v73, v3                                 // 000000007918: 0A920749
	v_mul_f32_e32 v74, v74, v4                                 // 00000000791C: 0A94094A
	v_mul_f32_e32 v75, v75, v5                                 // 000000007920: 0A960B4B
	v_mul_f32_e32 v72, v72, v136                               // 000000007924: 0A911148
	v_mul_f32_e32 v73, v73, v137                               // 000000007928: 0A931349
	v_mul_f32_e32 v74, v74, v138                               // 00000000792C: 0A95154A
	v_mul_f32_e32 v75, v75, v139                               // 000000007930: 0A97174B
	s_waitcnt vmcnt(14)                                        // 000000007934: BF8C0F7E
	buffer_load_dwordx4 a[24:27], v62, s[12:15], 0 offen offset:1024// 000000007938: E05C1400 8083183E
	v_mul_f32_e32 v2, v76, v76                                 // 000000007940: 0A04994C
	v_mul_f32_e32 v3, v77, v77                                 // 000000007944: 0A069B4D
	v_mul_f32_e32 v4, v78, v78                                 // 000000007948: 0A089D4E
	v_mul_f32_e32 v5, v79, v79                                 // 00000000794C: 0A0A9F4F
	v_fma_f32 v2, v2, s77, v1                                  // 000000007950: D1CB0002 04049B02
	v_fma_f32 v3, v3, s77, v1                                  // 000000007958: D1CB0003 04049B03
	v_fma_f32 v4, v4, s77, v1                                  // 000000007960: D1CB0004 04049B04
	v_fma_f32 v5, v5, s77, v1                                  // 000000007968: D1CB0005 04049B05
	v_mul_f32_e32 v2, v2, v76                                  // 000000007970: 0A049902
	v_mul_f32_e32 v3, v3, v77                                  // 000000007974: 0A069B03
	v_mul_f32_e32 v4, v4, v78                                  // 000000007978: 0A089D04
	v_mul_f32_e32 v5, v5, v79                                  // 00000000797C: 0A0A9F05
	v_mul_f32_e64 v2, v2, s6                                   // 000000007980: D1050002 00000D02
	v_mul_f32_e64 v3, v3, s6                                   // 000000007988: D1050003 00000D03
	v_mul_f32_e64 v4, v4, s6                                   // 000000007990: D1050004 00000D04
	v_mul_f32_e64 v5, v5, s6                                   // 000000007998: D1050005 00000D05
	v_exp_f32_e32 v2, v2                                       // 0000000079A0: 7E044102
	v_exp_f32_e32 v3, v3                                       // 0000000079A4: 7E064103
	v_exp_f32_e32 v4, v4                                       // 0000000079A8: 7E084104
	v_exp_f32_e32 v5, v5                                       // 0000000079AC: 7E0A4105
	buffer_load_dwordx4 a[28:31], v63, s[12:15], 0 offen offset:1024// 0000000079B0: E05C1400 80831C3F
	v_add_f32_e64 v2, v2, 1.0                                  // 0000000079B8: D1010002 0001E502
	v_add_f32_e64 v3, v3, 1.0                                  // 0000000079C0: D1010003 0001E503
	v_add_f32_e64 v4, v4, 1.0                                  // 0000000079C8: D1010004 0001E504
	v_add_f32_e64 v5, v5, 1.0                                  // 0000000079D0: D1010005 0001E505
	v_rcp_f32_e32 v2, v2                                       // 0000000079D8: 7E044502
	v_rcp_f32_e32 v3, v3                                       // 0000000079DC: 7E064503
	v_rcp_f32_e32 v4, v4                                       // 0000000079E0: 7E084504
	v_rcp_f32_e32 v5, v5                                       // 0000000079E4: 7E0A4505
	v_mul_f32_e32 v76, v76, v2                                 // 0000000079E8: 0A98054C
	v_mul_f32_e32 v77, v77, v3                                 // 0000000079EC: 0A9A074D
	v_mul_f32_e32 v78, v78, v4                                 // 0000000079F0: 0A9C094E
	v_mul_f32_e32 v79, v79, v5                                 // 0000000079F4: 0A9E0B4F
	v_mul_f32_e32 v76, v76, v140                               // 0000000079F8: 0A99194C
	v_mul_f32_e32 v77, v77, v141                               // 0000000079FC: 0A9B1B4D
	v_mul_f32_e32 v78, v78, v142                               // 000000007A00: 0A9D1D4E
	v_mul_f32_e32 v79, v79, v143                               // 000000007A04: 0A9F1F4F
	s_waitcnt vmcnt(14)                                        // 000000007A08: BF8C0F7E
	buffer_load_dwordx4 a[32:35], v60, s[12:15], 0 offen offset:2048// 000000007A0C: E05C1800 8083203C
	v_mul_f32_e32 v2, v80, v80                                 // 000000007A14: 0A04A150
	v_mul_f32_e32 v3, v81, v81                                 // 000000007A18: 0A06A351
	v_mul_f32_e32 v4, v82, v82                                 // 000000007A1C: 0A08A552
	v_mul_f32_e32 v5, v83, v83                                 // 000000007A20: 0A0AA753
	v_fma_f32 v2, v2, s77, v1                                  // 000000007A24: D1CB0002 04049B02
	v_fma_f32 v3, v3, s77, v1                                  // 000000007A2C: D1CB0003 04049B03
	v_fma_f32 v4, v4, s77, v1                                  // 000000007A34: D1CB0004 04049B04
	v_fma_f32 v5, v5, s77, v1                                  // 000000007A3C: D1CB0005 04049B05
	v_mul_f32_e32 v2, v2, v80                                  // 000000007A44: 0A04A102
	v_mul_f32_e32 v3, v3, v81                                  // 000000007A48: 0A06A303
	v_mul_f32_e32 v4, v4, v82                                  // 000000007A4C: 0A08A504
	v_mul_f32_e32 v5, v5, v83                                  // 000000007A50: 0A0AA705
	v_mul_f32_e64 v2, v2, s6                                   // 000000007A54: D1050002 00000D02
	v_mul_f32_e64 v3, v3, s6                                   // 000000007A5C: D1050003 00000D03
	v_mul_f32_e64 v4, v4, s6                                   // 000000007A64: D1050004 00000D04
	v_mul_f32_e64 v5, v5, s6                                   // 000000007A6C: D1050005 00000D05
	v_exp_f32_e32 v2, v2                                       // 000000007A74: 7E044102
	v_exp_f32_e32 v3, v3                                       // 000000007A78: 7E064103
	v_exp_f32_e32 v4, v4                                       // 000000007A7C: 7E084104
	v_exp_f32_e32 v5, v5                                       // 000000007A80: 7E0A4105
	buffer_load_dwordx4 a[36:39], v61, s[12:15], 0 offen offset:2048// 000000007A84: E05C1800 8083243D
	v_add_f32_e64 v2, v2, 1.0                                  // 000000007A8C: D1010002 0001E502
	v_add_f32_e64 v3, v3, 1.0                                  // 000000007A94: D1010003 0001E503
	v_add_f32_e64 v4, v4, 1.0                                  // 000000007A9C: D1010004 0001E504
	v_add_f32_e64 v5, v5, 1.0                                  // 000000007AA4: D1010005 0001E505
	v_rcp_f32_e32 v2, v2                                       // 000000007AAC: 7E044502
	v_rcp_f32_e32 v3, v3                                       // 000000007AB0: 7E064503
	v_rcp_f32_e32 v4, v4                                       // 000000007AB4: 7E084504
	v_rcp_f32_e32 v5, v5                                       // 000000007AB8: 7E0A4505
	v_mul_f32_e32 v80, v80, v2                                 // 000000007ABC: 0AA00550
	v_mul_f32_e32 v81, v81, v3                                 // 000000007AC0: 0AA20751
	v_mul_f32_e32 v82, v82, v4                                 // 000000007AC4: 0AA40952
	v_mul_f32_e32 v83, v83, v5                                 // 000000007AC8: 0AA60B53
	v_mul_f32_e32 v80, v80, v144                               // 000000007ACC: 0AA12150
	v_mul_f32_e32 v81, v81, v145                               // 000000007AD0: 0AA32351
	v_mul_f32_e32 v82, v82, v146                               // 000000007AD4: 0AA52552
	v_mul_f32_e32 v83, v83, v147                               // 000000007AD8: 0AA72753
	s_waitcnt vmcnt(14)                                        // 000000007ADC: BF8C0F7E
	buffer_load_dwordx4 a[40:43], v62, s[12:15], 0 offen offset:2048// 000000007AE0: E05C1800 8083283E
	v_mul_f32_e32 v2, v84, v84                                 // 000000007AE8: 0A04A954
	v_mul_f32_e32 v3, v85, v85                                 // 000000007AEC: 0A06AB55
	v_mul_f32_e32 v4, v86, v86                                 // 000000007AF0: 0A08AD56
	v_mul_f32_e32 v5, v87, v87                                 // 000000007AF4: 0A0AAF57
	v_fma_f32 v2, v2, s77, v1                                  // 000000007AF8: D1CB0002 04049B02
	v_fma_f32 v3, v3, s77, v1                                  // 000000007B00: D1CB0003 04049B03
	v_fma_f32 v4, v4, s77, v1                                  // 000000007B08: D1CB0004 04049B04
	v_fma_f32 v5, v5, s77, v1                                  // 000000007B10: D1CB0005 04049B05
	v_mul_f32_e32 v2, v2, v84                                  // 000000007B18: 0A04A902
	v_mul_f32_e32 v3, v3, v85                                  // 000000007B1C: 0A06AB03
	v_mul_f32_e32 v4, v4, v86                                  // 000000007B20: 0A08AD04
	v_mul_f32_e32 v5, v5, v87                                  // 000000007B24: 0A0AAF05
	v_mul_f32_e64 v2, v2, s6                                   // 000000007B28: D1050002 00000D02
	v_mul_f32_e64 v3, v3, s6                                   // 000000007B30: D1050003 00000D03
	v_mul_f32_e64 v4, v4, s6                                   // 000000007B38: D1050004 00000D04
	v_mul_f32_e64 v5, v5, s6                                   // 000000007B40: D1050005 00000D05
	v_exp_f32_e32 v2, v2                                       // 000000007B48: 7E044102
	v_exp_f32_e32 v3, v3                                       // 000000007B4C: 7E064103
	v_exp_f32_e32 v4, v4                                       // 000000007B50: 7E084104
	v_exp_f32_e32 v5, v5                                       // 000000007B54: 7E0A4105
	buffer_load_dwordx4 a[44:47], v63, s[12:15], 0 offen offset:2048// 000000007B58: E05C1800 80832C3F
	v_add_f32_e64 v2, v2, 1.0                                  // 000000007B60: D1010002 0001E502
	v_add_f32_e64 v3, v3, 1.0                                  // 000000007B68: D1010003 0001E503
	v_add_f32_e64 v4, v4, 1.0                                  // 000000007B70: D1010004 0001E504
	v_add_f32_e64 v5, v5, 1.0                                  // 000000007B78: D1010005 0001E505
	v_rcp_f32_e32 v2, v2                                       // 000000007B80: 7E044502
	v_rcp_f32_e32 v3, v3                                       // 000000007B84: 7E064503
	v_rcp_f32_e32 v4, v4                                       // 000000007B88: 7E084504
	v_rcp_f32_e32 v5, v5                                       // 000000007B8C: 7E0A4505
	v_mul_f32_e32 v84, v84, v2                                 // 000000007B90: 0AA80554
	v_mul_f32_e32 v85, v85, v3                                 // 000000007B94: 0AAA0755
	v_mul_f32_e32 v86, v86, v4                                 // 000000007B98: 0AAC0956
	v_mul_f32_e32 v87, v87, v5                                 // 000000007B9C: 0AAE0B57
	v_mul_f32_e32 v84, v84, v148                               // 000000007BA0: 0AA92954
	v_mul_f32_e32 v85, v85, v149                               // 000000007BA4: 0AAB2B55
	v_mul_f32_e32 v86, v86, v150                               // 000000007BA8: 0AAD2D56
	v_mul_f32_e32 v87, v87, v151                               // 000000007BAC: 0AAF2F57
	s_waitcnt vmcnt(14)                                        // 000000007BB0: BF8C0F7E
	buffer_load_dwordx4 a[48:51], v60, s[12:15], 0 offen offset:3072// 000000007BB4: E05C1C00 8083303C
	v_mul_f32_e32 v2, v88, v88                                 // 000000007BBC: 0A04B158
	v_mul_f32_e32 v3, v89, v89                                 // 000000007BC0: 0A06B359
	v_mul_f32_e32 v4, v90, v90                                 // 000000007BC4: 0A08B55A
	v_mul_f32_e32 v5, v91, v91                                 // 000000007BC8: 0A0AB75B
	v_fma_f32 v2, v2, s77, v1                                  // 000000007BCC: D1CB0002 04049B02
	v_fma_f32 v3, v3, s77, v1                                  // 000000007BD4: D1CB0003 04049B03
	v_fma_f32 v4, v4, s77, v1                                  // 000000007BDC: D1CB0004 04049B04
	v_fma_f32 v5, v5, s77, v1                                  // 000000007BE4: D1CB0005 04049B05
	v_mul_f32_e32 v2, v2, v88                                  // 000000007BEC: 0A04B102
	v_mul_f32_e32 v3, v3, v89                                  // 000000007BF0: 0A06B303
	v_mul_f32_e32 v4, v4, v90                                  // 000000007BF4: 0A08B504
	v_mul_f32_e32 v5, v5, v91                                  // 000000007BF8: 0A0AB705
	v_mul_f32_e64 v2, v2, s6                                   // 000000007BFC: D1050002 00000D02
	v_mul_f32_e64 v3, v3, s6                                   // 000000007C04: D1050003 00000D03
	v_mul_f32_e64 v4, v4, s6                                   // 000000007C0C: D1050004 00000D04
	v_mul_f32_e64 v5, v5, s6                                   // 000000007C14: D1050005 00000D05
	v_exp_f32_e32 v2, v2                                       // 000000007C1C: 7E044102
	v_exp_f32_e32 v3, v3                                       // 000000007C20: 7E064103
	v_exp_f32_e32 v4, v4                                       // 000000007C24: 7E084104
	v_exp_f32_e32 v5, v5                                       // 000000007C28: 7E0A4105
	buffer_load_dwordx4 a[52:55], v61, s[12:15], 0 offen offset:3072// 000000007C2C: E05C1C00 8083343D
	v_add_f32_e64 v2, v2, 1.0                                  // 000000007C34: D1010002 0001E502
	v_add_f32_e64 v3, v3, 1.0                                  // 000000007C3C: D1010003 0001E503
	v_add_f32_e64 v4, v4, 1.0                                  // 000000007C44: D1010004 0001E504
	v_add_f32_e64 v5, v5, 1.0                                  // 000000007C4C: D1010005 0001E505
	v_rcp_f32_e32 v2, v2                                       // 000000007C54: 7E044502
	v_rcp_f32_e32 v3, v3                                       // 000000007C58: 7E064503
	v_rcp_f32_e32 v4, v4                                       // 000000007C5C: 7E084504
	v_rcp_f32_e32 v5, v5                                       // 000000007C60: 7E0A4505
	v_mul_f32_e32 v88, v88, v2                                 // 000000007C64: 0AB00558
	v_mul_f32_e32 v89, v89, v3                                 // 000000007C68: 0AB20759
	v_mul_f32_e32 v90, v90, v4                                 // 000000007C6C: 0AB4095A
	v_mul_f32_e32 v91, v91, v5                                 // 000000007C70: 0AB60B5B
	v_mul_f32_e32 v88, v88, v152                               // 000000007C74: 0AB13158
	v_mul_f32_e32 v89, v89, v153                               // 000000007C78: 0AB33359
	v_mul_f32_e32 v90, v90, v154                               // 000000007C7C: 0AB5355A
	v_mul_f32_e32 v91, v91, v155                               // 000000007C80: 0AB7375B
	s_waitcnt vmcnt(14)                                        // 000000007C84: BF8C0F7E
	buffer_load_dwordx4 a[56:59], v62, s[12:15], 0 offen offset:3072// 000000007C88: E05C1C00 8083383E
	v_mul_f32_e32 v2, v92, v92                                 // 000000007C90: 0A04B95C
	v_mul_f32_e32 v3, v93, v93                                 // 000000007C94: 0A06BB5D
	v_mul_f32_e32 v4, v94, v94                                 // 000000007C98: 0A08BD5E
	v_mul_f32_e32 v5, v95, v95                                 // 000000007C9C: 0A0ABF5F
	v_fma_f32 v2, v2, s77, v1                                  // 000000007CA0: D1CB0002 04049B02
	v_fma_f32 v3, v3, s77, v1                                  // 000000007CA8: D1CB0003 04049B03
	v_fma_f32 v4, v4, s77, v1                                  // 000000007CB0: D1CB0004 04049B04
	v_fma_f32 v5, v5, s77, v1                                  // 000000007CB8: D1CB0005 04049B05
	v_mul_f32_e32 v2, v2, v92                                  // 000000007CC0: 0A04B902
	v_mul_f32_e32 v3, v3, v93                                  // 000000007CC4: 0A06BB03
	v_mul_f32_e32 v4, v4, v94                                  // 000000007CC8: 0A08BD04
	v_mul_f32_e32 v5, v5, v95                                  // 000000007CCC: 0A0ABF05
	v_mul_f32_e64 v2, v2, s6                                   // 000000007CD0: D1050002 00000D02
	v_mul_f32_e64 v3, v3, s6                                   // 000000007CD8: D1050003 00000D03
	v_mul_f32_e64 v4, v4, s6                                   // 000000007CE0: D1050004 00000D04
	v_mul_f32_e64 v5, v5, s6                                   // 000000007CE8: D1050005 00000D05
	v_exp_f32_e32 v2, v2                                       // 000000007CF0: 7E044102
	v_exp_f32_e32 v3, v3                                       // 000000007CF4: 7E064103
	v_exp_f32_e32 v4, v4                                       // 000000007CF8: 7E084104
	v_exp_f32_e32 v5, v5                                       // 000000007CFC: 7E0A4105
	buffer_load_dwordx4 a[60:63], v63, s[12:15], 0 offen offset:3072// 000000007D00: E05C1C00 80833C3F
	v_add_f32_e64 v2, v2, 1.0                                  // 000000007D08: D1010002 0001E502
	v_add_f32_e64 v3, v3, 1.0                                  // 000000007D10: D1010003 0001E503
	v_add_f32_e64 v4, v4, 1.0                                  // 000000007D18: D1010004 0001E504
	v_add_f32_e64 v5, v5, 1.0                                  // 000000007D20: D1010005 0001E505
	v_rcp_f32_e32 v2, v2                                       // 000000007D28: 7E044502
	v_rcp_f32_e32 v3, v3                                       // 000000007D2C: 7E064503
	v_rcp_f32_e32 v4, v4                                       // 000000007D30: 7E084504
	v_rcp_f32_e32 v5, v5                                       // 000000007D34: 7E0A4505
	v_mul_f32_e32 v92, v92, v2                                 // 000000007D38: 0AB8055C
	v_mul_f32_e32 v93, v93, v3                                 // 000000007D3C: 0ABA075D
	v_mul_f32_e32 v94, v94, v4                                 // 000000007D40: 0ABC095E
	v_mul_f32_e32 v95, v95, v5                                 // 000000007D44: 0ABE0B5F
	v_mul_f32_e32 v92, v92, v156                               // 000000007D48: 0AB9395C
	v_mul_f32_e32 v93, v93, v157                               // 000000007D4C: 0ABB3B5D
	v_mul_f32_e32 v94, v94, v158                               // 000000007D50: 0ABD3D5E
	v_mul_f32_e32 v95, v95, v159                               // 000000007D54: 0ABF3F5F
	s_waitcnt vmcnt(14)                                        // 000000007D58: BF8C0F7E
	v_mul_f32_e32 v2, v96, v96                                 // 000000007D5C: 0A04C160
	v_mul_f32_e32 v3, v97, v97                                 // 000000007D60: 0A06C361
	v_mul_f32_e32 v4, v98, v98                                 // 000000007D64: 0A08C562
	v_mul_f32_e32 v5, v99, v99                                 // 000000007D68: 0A0AC763
	v_fma_f32 v2, v2, s77, v1                                  // 000000007D6C: D1CB0002 04049B02
	v_fma_f32 v3, v3, s77, v1                                  // 000000007D74: D1CB0003 04049B03
	v_fma_f32 v4, v4, s77, v1                                  // 000000007D7C: D1CB0004 04049B04
	v_fma_f32 v5, v5, s77, v1                                  // 000000007D84: D1CB0005 04049B05
	v_mul_f32_e32 v2, v2, v96                                  // 000000007D8C: 0A04C102
	v_mul_f32_e32 v3, v3, v97                                  // 000000007D90: 0A06C303
	v_mul_f32_e32 v4, v4, v98                                  // 000000007D94: 0A08C504
	v_mul_f32_e32 v5, v5, v99                                  // 000000007D98: 0A0AC705
	v_mul_f32_e64 v2, v2, s6                                   // 000000007D9C: D1050002 00000D02
	v_mul_f32_e64 v3, v3, s6                                   // 000000007DA4: D1050003 00000D03
	v_mul_f32_e64 v4, v4, s6                                   // 000000007DAC: D1050004 00000D04
	v_mul_f32_e64 v5, v5, s6                                   // 000000007DB4: D1050005 00000D05
	v_exp_f32_e32 v2, v2                                       // 000000007DBC: 7E044102
	v_exp_f32_e32 v3, v3                                       // 000000007DC0: 7E064103
	v_exp_f32_e32 v4, v4                                       // 000000007DC4: 7E084104
	v_exp_f32_e32 v5, v5                                       // 000000007DC8: 7E0A4105
	v_add_f32_e64 v2, v2, 1.0                                  // 000000007DCC: D1010002 0001E502
	v_add_f32_e64 v3, v3, 1.0                                  // 000000007DD4: D1010003 0001E503
	v_add_f32_e64 v4, v4, 1.0                                  // 000000007DDC: D1010004 0001E504
	v_add_f32_e64 v5, v5, 1.0                                  // 000000007DE4: D1010005 0001E505
	v_rcp_f32_e32 v2, v2                                       // 000000007DEC: 7E044502
	v_rcp_f32_e32 v3, v3                                       // 000000007DF0: 7E064503
	v_rcp_f32_e32 v4, v4                                       // 000000007DF4: 7E084504
	v_rcp_f32_e32 v5, v5                                       // 000000007DF8: 7E0A4505
	v_mul_f32_e32 v96, v96, v2                                 // 000000007DFC: 0AC00560
	v_mul_f32_e32 v97, v97, v3                                 // 000000007E00: 0AC20761
	v_mul_f32_e32 v98, v98, v4                                 // 000000007E04: 0AC40962
	v_mul_f32_e32 v99, v99, v5                                 // 000000007E08: 0AC60B63
	v_mul_f32_e32 v96, v96, v160                               // 000000007E0C: 0AC14160
	v_mul_f32_e32 v97, v97, v161                               // 000000007E10: 0AC34361
	v_mul_f32_e32 v98, v98, v162                               // 000000007E14: 0AC54562
	v_mul_f32_e32 v99, v99, v163                               // 000000007E18: 0AC74763
	s_waitcnt vmcnt(14)                                        // 000000007E1C: BF8C0F7E
	v_mul_f32_e32 v2, v100, v100                               // 000000007E20: 0A04C964
	v_mul_f32_e32 v3, v101, v101                               // 000000007E24: 0A06CB65
	v_mul_f32_e32 v4, v102, v102                               // 000000007E28: 0A08CD66
	v_mul_f32_e32 v5, v103, v103                               // 000000007E2C: 0A0ACF67
	v_fma_f32 v2, v2, s77, v1                                  // 000000007E30: D1CB0002 04049B02
	v_fma_f32 v3, v3, s77, v1                                  // 000000007E38: D1CB0003 04049B03
	v_fma_f32 v4, v4, s77, v1                                  // 000000007E40: D1CB0004 04049B04
	v_fma_f32 v5, v5, s77, v1                                  // 000000007E48: D1CB0005 04049B05
	v_mul_f32_e32 v2, v2, v100                                 // 000000007E50: 0A04C902
	v_mul_f32_e32 v3, v3, v101                                 // 000000007E54: 0A06CB03
	v_mul_f32_e32 v4, v4, v102                                 // 000000007E58: 0A08CD04
	v_mul_f32_e32 v5, v5, v103                                 // 000000007E5C: 0A0ACF05
	v_mul_f32_e64 v2, v2, s6                                   // 000000007E60: D1050002 00000D02
	v_mul_f32_e64 v3, v3, s6                                   // 000000007E68: D1050003 00000D03
	v_mul_f32_e64 v4, v4, s6                                   // 000000007E70: D1050004 00000D04
	v_mul_f32_e64 v5, v5, s6                                   // 000000007E78: D1050005 00000D05
	v_exp_f32_e32 v2, v2                                       // 000000007E80: 7E044102
	v_exp_f32_e32 v3, v3                                       // 000000007E84: 7E064103
	v_exp_f32_e32 v4, v4                                       // 000000007E88: 7E084104
	v_exp_f32_e32 v5, v5                                       // 000000007E8C: 7E0A4105
	v_add_f32_e64 v2, v2, 1.0                                  // 000000007E90: D1010002 0001E502
	v_add_f32_e64 v3, v3, 1.0                                  // 000000007E98: D1010003 0001E503
	v_add_f32_e64 v4, v4, 1.0                                  // 000000007EA0: D1010004 0001E504
	v_add_f32_e64 v5, v5, 1.0                                  // 000000007EA8: D1010005 0001E505
	v_rcp_f32_e32 v2, v2                                       // 000000007EB0: 7E044502
	v_rcp_f32_e32 v3, v3                                       // 000000007EB4: 7E064503
	v_rcp_f32_e32 v4, v4                                       // 000000007EB8: 7E084504
	v_rcp_f32_e32 v5, v5                                       // 000000007EBC: 7E0A4505
	v_mul_f32_e32 v100, v100, v2                               // 000000007EC0: 0AC80564
	v_mul_f32_e32 v101, v101, v3                               // 000000007EC4: 0ACA0765
	v_mul_f32_e32 v102, v102, v4                               // 000000007EC8: 0ACC0966
	v_mul_f32_e32 v103, v103, v5                               // 000000007ECC: 0ACE0B67
	v_mul_f32_e32 v100, v100, v164                             // 000000007ED0: 0AC94964
	v_mul_f32_e32 v101, v101, v165                             // 000000007ED4: 0ACB4B65
	v_mul_f32_e32 v102, v102, v166                             // 000000007ED8: 0ACD4D66
	v_mul_f32_e32 v103, v103, v167                             // 000000007EDC: 0ACF4F67
	s_waitcnt vmcnt(14)                                        // 000000007EE0: BF8C0F7E
	v_mul_f32_e32 v2, v104, v104                               // 000000007EE4: 0A04D168
	v_mul_f32_e32 v3, v105, v105                               // 000000007EE8: 0A06D369
	v_mul_f32_e32 v4, v106, v106                               // 000000007EEC: 0A08D56A
	v_mul_f32_e32 v5, v107, v107                               // 000000007EF0: 0A0AD76B
	v_fma_f32 v2, v2, s77, v1                                  // 000000007EF4: D1CB0002 04049B02
	v_fma_f32 v3, v3, s77, v1                                  // 000000007EFC: D1CB0003 04049B03
	v_fma_f32 v4, v4, s77, v1                                  // 000000007F04: D1CB0004 04049B04
	v_fma_f32 v5, v5, s77, v1                                  // 000000007F0C: D1CB0005 04049B05
	v_mul_f32_e32 v2, v2, v104                                 // 000000007F14: 0A04D102
	v_mul_f32_e32 v3, v3, v105                                 // 000000007F18: 0A06D303
	v_mul_f32_e32 v4, v4, v106                                 // 000000007F1C: 0A08D504
	v_mul_f32_e32 v5, v5, v107                                 // 000000007F20: 0A0AD705
	v_mul_f32_e64 v2, v2, s6                                   // 000000007F24: D1050002 00000D02
	v_mul_f32_e64 v3, v3, s6                                   // 000000007F2C: D1050003 00000D03
	v_mul_f32_e64 v4, v4, s6                                   // 000000007F34: D1050004 00000D04
	v_mul_f32_e64 v5, v5, s6                                   // 000000007F3C: D1050005 00000D05
	v_exp_f32_e32 v2, v2                                       // 000000007F44: 7E044102
	v_exp_f32_e32 v3, v3                                       // 000000007F48: 7E064103
	v_exp_f32_e32 v4, v4                                       // 000000007F4C: 7E084104
	v_exp_f32_e32 v5, v5                                       // 000000007F50: 7E0A4105
	v_add_f32_e64 v2, v2, 1.0                                  // 000000007F54: D1010002 0001E502
	v_add_f32_e64 v3, v3, 1.0                                  // 000000007F5C: D1010003 0001E503
	v_add_f32_e64 v4, v4, 1.0                                  // 000000007F64: D1010004 0001E504
	v_add_f32_e64 v5, v5, 1.0                                  // 000000007F6C: D1010005 0001E505
	v_rcp_f32_e32 v2, v2                                       // 000000007F74: 7E044502
	v_rcp_f32_e32 v3, v3                                       // 000000007F78: 7E064503
	v_rcp_f32_e32 v4, v4                                       // 000000007F7C: 7E084504
	v_rcp_f32_e32 v5, v5                                       // 000000007F80: 7E0A4505
	v_mul_f32_e32 v104, v104, v2                               // 000000007F84: 0AD00568
	v_mul_f32_e32 v105, v105, v3                               // 000000007F88: 0AD20769
	v_mul_f32_e32 v106, v106, v4                               // 000000007F8C: 0AD4096A
	v_mul_f32_e32 v107, v107, v5                               // 000000007F90: 0AD60B6B
	v_mul_f32_e32 v104, v104, v168                             // 000000007F94: 0AD15168
	v_mul_f32_e32 v105, v105, v169                             // 000000007F98: 0AD35369
	v_mul_f32_e32 v106, v106, v170                             // 000000007F9C: 0AD5556A
	v_mul_f32_e32 v107, v107, v171                             // 000000007FA0: 0AD7576B
	s_waitcnt vmcnt(14)                                        // 000000007FA4: BF8C0F7E
	v_mul_f32_e32 v2, v108, v108                               // 000000007FA8: 0A04D96C
	v_mul_f32_e32 v3, v109, v109                               // 000000007FAC: 0A06DB6D
	v_mul_f32_e32 v4, v110, v110                               // 000000007FB0: 0A08DD6E
	v_mul_f32_e32 v5, v111, v111                               // 000000007FB4: 0A0ADF6F
	v_fma_f32 v2, v2, s77, v1                                  // 000000007FB8: D1CB0002 04049B02
	v_fma_f32 v3, v3, s77, v1                                  // 000000007FC0: D1CB0003 04049B03
	v_fma_f32 v4, v4, s77, v1                                  // 000000007FC8: D1CB0004 04049B04
	v_fma_f32 v5, v5, s77, v1                                  // 000000007FD0: D1CB0005 04049B05
	v_mul_f32_e32 v2, v2, v108                                 // 000000007FD8: 0A04D902
	v_mul_f32_e32 v3, v3, v109                                 // 000000007FDC: 0A06DB03
	v_mul_f32_e32 v4, v4, v110                                 // 000000007FE0: 0A08DD04
	v_mul_f32_e32 v5, v5, v111                                 // 000000007FE4: 0A0ADF05
	v_mul_f32_e64 v2, v2, s6                                   // 000000007FE8: D1050002 00000D02
	v_mul_f32_e64 v3, v3, s6                                   // 000000007FF0: D1050003 00000D03
	v_mul_f32_e64 v4, v4, s6                                   // 000000007FF8: D1050004 00000D04
	v_mul_f32_e64 v5, v5, s6                                   // 000000008000: D1050005 00000D05
	v_exp_f32_e32 v2, v2                                       // 000000008008: 7E044102
	v_exp_f32_e32 v3, v3                                       // 00000000800C: 7E064103
	v_exp_f32_e32 v4, v4                                       // 000000008010: 7E084104
	v_exp_f32_e32 v5, v5                                       // 000000008014: 7E0A4105
	v_add_f32_e64 v2, v2, 1.0                                  // 000000008018: D1010002 0001E502
	v_add_f32_e64 v3, v3, 1.0                                  // 000000008020: D1010003 0001E503
	v_add_f32_e64 v4, v4, 1.0                                  // 000000008028: D1010004 0001E504
	v_add_f32_e64 v5, v5, 1.0                                  // 000000008030: D1010005 0001E505
	v_rcp_f32_e32 v2, v2                                       // 000000008038: 7E044502
	v_rcp_f32_e32 v3, v3                                       // 00000000803C: 7E064503
	v_rcp_f32_e32 v4, v4                                       // 000000008040: 7E084504
	v_rcp_f32_e32 v5, v5                                       // 000000008044: 7E0A4505
	v_mul_f32_e32 v108, v108, v2                               // 000000008048: 0AD8056C
	v_mul_f32_e32 v109, v109, v3                               // 00000000804C: 0ADA076D
	v_mul_f32_e32 v110, v110, v4                               // 000000008050: 0ADC096E
	v_mul_f32_e32 v111, v111, v5                               // 000000008054: 0ADE0B6F
	v_mul_f32_e32 v108, v108, v172                             // 000000008058: 0AD9596C
	v_mul_f32_e32 v109, v109, v173                             // 00000000805C: 0ADB5B6D
	v_mul_f32_e32 v110, v110, v174                             // 000000008060: 0ADD5D6E
	v_mul_f32_e32 v111, v111, v175                             // 000000008064: 0ADF5F6F
	s_waitcnt vmcnt(14)                                        // 000000008068: BF8C0F7E
	v_mul_f32_e32 v2, v112, v112                               // 00000000806C: 0A04E170
	v_mul_f32_e32 v3, v113, v113                               // 000000008070: 0A06E371
	v_mul_f32_e32 v4, v114, v114                               // 000000008074: 0A08E572
	v_mul_f32_e32 v5, v115, v115                               // 000000008078: 0A0AE773
	v_fma_f32 v2, v2, s77, v1                                  // 00000000807C: D1CB0002 04049B02
	v_fma_f32 v3, v3, s77, v1                                  // 000000008084: D1CB0003 04049B03
	v_fma_f32 v4, v4, s77, v1                                  // 00000000808C: D1CB0004 04049B04
	v_fma_f32 v5, v5, s77, v1                                  // 000000008094: D1CB0005 04049B05
	v_mul_f32_e32 v2, v2, v112                                 // 00000000809C: 0A04E102
	v_mul_f32_e32 v3, v3, v113                                 // 0000000080A0: 0A06E303
	v_mul_f32_e32 v4, v4, v114                                 // 0000000080A4: 0A08E504
	v_mul_f32_e32 v5, v5, v115                                 // 0000000080A8: 0A0AE705
	v_mul_f32_e64 v2, v2, s6                                   // 0000000080AC: D1050002 00000D02
	v_mul_f32_e64 v3, v3, s6                                   // 0000000080B4: D1050003 00000D03
	v_mul_f32_e64 v4, v4, s6                                   // 0000000080BC: D1050004 00000D04
	v_mul_f32_e64 v5, v5, s6                                   // 0000000080C4: D1050005 00000D05
	v_exp_f32_e32 v2, v2                                       // 0000000080CC: 7E044102
	v_exp_f32_e32 v3, v3                                       // 0000000080D0: 7E064103
	v_exp_f32_e32 v4, v4                                       // 0000000080D4: 7E084104
	v_exp_f32_e32 v5, v5                                       // 0000000080D8: 7E0A4105
	v_add_f32_e64 v2, v2, 1.0                                  // 0000000080DC: D1010002 0001E502
	v_add_f32_e64 v3, v3, 1.0                                  // 0000000080E4: D1010003 0001E503
	v_add_f32_e64 v4, v4, 1.0                                  // 0000000080EC: D1010004 0001E504
	v_add_f32_e64 v5, v5, 1.0                                  // 0000000080F4: D1010005 0001E505
	v_rcp_f32_e32 v2, v2                                       // 0000000080FC: 7E044502
	v_rcp_f32_e32 v3, v3                                       // 000000008100: 7E064503
	v_rcp_f32_e32 v4, v4                                       // 000000008104: 7E084504
	v_rcp_f32_e32 v5, v5                                       // 000000008108: 7E0A4505
	v_mul_f32_e32 v112, v112, v2                               // 00000000810C: 0AE00570
	v_mul_f32_e32 v113, v113, v3                               // 000000008110: 0AE20771
	v_mul_f32_e32 v114, v114, v4                               // 000000008114: 0AE40972
	v_mul_f32_e32 v115, v115, v5                               // 000000008118: 0AE60B73
	v_mul_f32_e32 v112, v112, v176                             // 00000000811C: 0AE16170
	v_mul_f32_e32 v113, v113, v177                             // 000000008120: 0AE36371
	v_mul_f32_e32 v114, v114, v178                             // 000000008124: 0AE56572
	v_mul_f32_e32 v115, v115, v179                             // 000000008128: 0AE76773
	s_waitcnt vmcnt(14)                                        // 00000000812C: BF8C0F7E
	v_mul_f32_e32 v2, v116, v116                               // 000000008130: 0A04E974
	v_mul_f32_e32 v3, v117, v117                               // 000000008134: 0A06EB75
	v_mul_f32_e32 v4, v118, v118                               // 000000008138: 0A08ED76
	v_mul_f32_e32 v5, v119, v119                               // 00000000813C: 0A0AEF77
	v_fma_f32 v2, v2, s77, v1                                  // 000000008140: D1CB0002 04049B02
	v_fma_f32 v3, v3, s77, v1                                  // 000000008148: D1CB0003 04049B03
	v_fma_f32 v4, v4, s77, v1                                  // 000000008150: D1CB0004 04049B04
	v_fma_f32 v5, v5, s77, v1                                  // 000000008158: D1CB0005 04049B05
	v_mul_f32_e32 v2, v2, v116                                 // 000000008160: 0A04E902
	v_mul_f32_e32 v3, v3, v117                                 // 000000008164: 0A06EB03
	v_mul_f32_e32 v4, v4, v118                                 // 000000008168: 0A08ED04
	v_mul_f32_e32 v5, v5, v119                                 // 00000000816C: 0A0AEF05
	v_mul_f32_e64 v2, v2, s6                                   // 000000008170: D1050002 00000D02
	v_mul_f32_e64 v3, v3, s6                                   // 000000008178: D1050003 00000D03
	v_mul_f32_e64 v4, v4, s6                                   // 000000008180: D1050004 00000D04
	v_mul_f32_e64 v5, v5, s6                                   // 000000008188: D1050005 00000D05
	v_exp_f32_e32 v2, v2                                       // 000000008190: 7E044102
	v_exp_f32_e32 v3, v3                                       // 000000008194: 7E064103
	v_exp_f32_e32 v4, v4                                       // 000000008198: 7E084104
	v_exp_f32_e32 v5, v5                                       // 00000000819C: 7E0A4105
	v_add_f32_e64 v2, v2, 1.0                                  // 0000000081A0: D1010002 0001E502
	v_add_f32_e64 v3, v3, 1.0                                  // 0000000081A8: D1010003 0001E503
	v_add_f32_e64 v4, v4, 1.0                                  // 0000000081B0: D1010004 0001E504
	v_add_f32_e64 v5, v5, 1.0                                  // 0000000081B8: D1010005 0001E505
	v_rcp_f32_e32 v2, v2                                       // 0000000081C0: 7E044502
	v_rcp_f32_e32 v3, v3                                       // 0000000081C4: 7E064503
	v_rcp_f32_e32 v4, v4                                       // 0000000081C8: 7E084504
	v_rcp_f32_e32 v5, v5                                       // 0000000081CC: 7E0A4505
	v_mul_f32_e32 v116, v116, v2                               // 0000000081D0: 0AE80574
	v_mul_f32_e32 v117, v117, v3                               // 0000000081D4: 0AEA0775
	v_mul_f32_e32 v118, v118, v4                               // 0000000081D8: 0AEC0976
	v_mul_f32_e32 v119, v119, v5                               // 0000000081DC: 0AEE0B77
	v_mul_f32_e32 v116, v116, v180                             // 0000000081E0: 0AE96974
	v_mul_f32_e32 v117, v117, v181                             // 0000000081E4: 0AEB6B75
	v_mul_f32_e32 v118, v118, v182                             // 0000000081E8: 0AED6D76
	v_mul_f32_e32 v119, v119, v183                             // 0000000081EC: 0AEF6F77
	s_waitcnt vmcnt(14)                                        // 0000000081F0: BF8C0F7E
	v_mul_f32_e32 v2, v120, v120                               // 0000000081F4: 0A04F178
	v_mul_f32_e32 v3, v121, v121                               // 0000000081F8: 0A06F379
	v_mul_f32_e32 v4, v122, v122                               // 0000000081FC: 0A08F57A
	v_mul_f32_e32 v5, v123, v123                               // 000000008200: 0A0AF77B
	v_fma_f32 v2, v2, s77, v1                                  // 000000008204: D1CB0002 04049B02
	v_fma_f32 v3, v3, s77, v1                                  // 00000000820C: D1CB0003 04049B03
	v_fma_f32 v4, v4, s77, v1                                  // 000000008214: D1CB0004 04049B04
	v_fma_f32 v5, v5, s77, v1                                  // 00000000821C: D1CB0005 04049B05
	v_mul_f32_e32 v2, v2, v120                                 // 000000008224: 0A04F102
	v_mul_f32_e32 v3, v3, v121                                 // 000000008228: 0A06F303
	v_mul_f32_e32 v4, v4, v122                                 // 00000000822C: 0A08F504
	v_mul_f32_e32 v5, v5, v123                                 // 000000008230: 0A0AF705
	v_mul_f32_e64 v2, v2, s6                                   // 000000008234: D1050002 00000D02
	v_mul_f32_e64 v3, v3, s6                                   // 00000000823C: D1050003 00000D03
	v_mul_f32_e64 v4, v4, s6                                   // 000000008244: D1050004 00000D04
	v_mul_f32_e64 v5, v5, s6                                   // 00000000824C: D1050005 00000D05
	v_exp_f32_e32 v2, v2                                       // 000000008254: 7E044102
	v_exp_f32_e32 v3, v3                                       // 000000008258: 7E064103
	v_exp_f32_e32 v4, v4                                       // 00000000825C: 7E084104
	v_exp_f32_e32 v5, v5                                       // 000000008260: 7E0A4105
	v_add_f32_e64 v2, v2, 1.0                                  // 000000008264: D1010002 0001E502
	v_add_f32_e64 v3, v3, 1.0                                  // 00000000826C: D1010003 0001E503
	v_add_f32_e64 v4, v4, 1.0                                  // 000000008274: D1010004 0001E504
	v_add_f32_e64 v5, v5, 1.0                                  // 00000000827C: D1010005 0001E505
	v_rcp_f32_e32 v2, v2                                       // 000000008284: 7E044502
	v_rcp_f32_e32 v3, v3                                       // 000000008288: 7E064503
	v_rcp_f32_e32 v4, v4                                       // 00000000828C: 7E084504
	v_rcp_f32_e32 v5, v5                                       // 000000008290: 7E0A4505
	v_mul_f32_e32 v120, v120, v2                               // 000000008294: 0AF00578
	v_mul_f32_e32 v121, v121, v3                               // 000000008298: 0AF20779
	v_mul_f32_e32 v122, v122, v4                               // 00000000829C: 0AF4097A
	v_mul_f32_e32 v123, v123, v5                               // 0000000082A0: 0AF60B7B
	v_mul_f32_e32 v120, v120, v184                             // 0000000082A4: 0AF17178
	v_mul_f32_e32 v121, v121, v185                             // 0000000082A8: 0AF37379
	v_mul_f32_e32 v122, v122, v186                             // 0000000082AC: 0AF5757A
	v_mul_f32_e32 v123, v123, v187                             // 0000000082B0: 0AF7777B
	s_waitcnt vmcnt(14)                                        // 0000000082B4: BF8C0F7E
	v_mul_f32_e32 v2, v124, v124                               // 0000000082B8: 0A04F97C
	v_mul_f32_e32 v3, v125, v125                               // 0000000082BC: 0A06FB7D
	v_mul_f32_e32 v4, v126, v126                               // 0000000082C0: 0A08FD7E
	v_mul_f32_e32 v5, v127, v127                               // 0000000082C4: 0A0AFF7F
	v_fma_f32 v2, v2, s77, v1                                  // 0000000082C8: D1CB0002 04049B02
	v_fma_f32 v3, v3, s77, v1                                  // 0000000082D0: D1CB0003 04049B03
	v_fma_f32 v4, v4, s77, v1                                  // 0000000082D8: D1CB0004 04049B04
	v_fma_f32 v5, v5, s77, v1                                  // 0000000082E0: D1CB0005 04049B05
	v_mul_f32_e32 v2, v2, v124                                 // 0000000082E8: 0A04F902
	v_mul_f32_e32 v3, v3, v125                                 // 0000000082EC: 0A06FB03
	v_mul_f32_e32 v4, v4, v126                                 // 0000000082F0: 0A08FD04
	v_mul_f32_e32 v5, v5, v127                                 // 0000000082F4: 0A0AFF05
	v_mul_f32_e64 v2, v2, s6                                   // 0000000082F8: D1050002 00000D02
	v_mul_f32_e64 v3, v3, s6                                   // 000000008300: D1050003 00000D03
	v_mul_f32_e64 v4, v4, s6                                   // 000000008308: D1050004 00000D04
	v_mul_f32_e64 v5, v5, s6                                   // 000000008310: D1050005 00000D05
	v_exp_f32_e32 v2, v2                                       // 000000008318: 7E044102
	v_exp_f32_e32 v3, v3                                       // 00000000831C: 7E064103
	v_exp_f32_e32 v4, v4                                       // 000000008320: 7E084104
	v_exp_f32_e32 v5, v5                                       // 000000008324: 7E0A4105
	v_add_f32_e64 v2, v2, 1.0                                  // 000000008328: D1010002 0001E502
	v_add_f32_e64 v3, v3, 1.0                                  // 000000008330: D1010003 0001E503
	v_add_f32_e64 v4, v4, 1.0                                  // 000000008338: D1010004 0001E504
	v_add_f32_e64 v5, v5, 1.0                                  // 000000008340: D1010005 0001E505
	v_rcp_f32_e32 v2, v2                                       // 000000008348: 7E044502
	v_rcp_f32_e32 v3, v3                                       // 00000000834C: 7E064503
	v_rcp_f32_e32 v4, v4                                       // 000000008350: 7E084504
	v_rcp_f32_e32 v5, v5                                       // 000000008354: 7E0A4505
	v_mul_f32_e32 v124, v124, v2                               // 000000008358: 0AF8057C
	v_mul_f32_e32 v125, v125, v3                               // 00000000835C: 0AFA077D
	v_mul_f32_e32 v126, v126, v4                               // 000000008360: 0AFC097E
	v_mul_f32_e32 v127, v127, v5                               // 000000008364: 0AFE0B7F
	v_mul_f32_e32 v124, v124, v188                             // 000000008368: 0AF9797C
	v_mul_f32_e32 v125, v125, v189                             // 00000000836C: 0AFB7B7D
	v_mul_f32_e32 v126, v126, v190                             // 000000008370: 0AFD7D7E
	v_mul_f32_e32 v127, v127, v191                             // 000000008374: 0AFF7F7F
	v_lshlrev_b32_e32 v2, 2, v0                                // 000000008378: 24040082
	s_mul_i32 s60, s82, s71                                    // 00000000837C: 923C4752
	v_add_u32_e64 v144, v2, s60                                // 000000008380: D1340090 00007902
	v_mov_b32_e32 v145, 0                                      // 000000008388: 7F220280
	s_mul_i32 s60, s83, s71                                    // 00000000838C: 923C4753
	v_add_u32_e64 v146, v2, s60                                // 000000008390: D1340092 00007902
	v_mov_b32_e32 v147, 0                                      // 000000008398: 7F260280
	s_mul_i32 s60, s84, s71                                    // 00000000839C: 923C4754
	v_add_u32_e64 v148, v2, s60                                // 0000000083A0: D1340094 00007902
	v_mov_b32_e32 v149, 0                                      // 0000000083A8: 7F2A0280
	s_mul_i32 s60, s85, s71                                    // 0000000083AC: 923C4755
	v_add_u32_e64 v150, v2, s60                                // 0000000083B0: D1340096 00007902
	v_mov_b32_e32 v151, 0                                      // 0000000083B8: 7F2E0280
	s_mul_i32 s60, s86, s71                                    // 0000000083BC: 923C4756
	v_add_u32_e64 v152, v2, s60                                // 0000000083C0: D1340098 00007902
	v_mov_b32_e32 v153, 0                                      // 0000000083C8: 7F320280
	s_mul_i32 s60, s87, s71                                    // 0000000083CC: 923C4757
	v_add_u32_e64 v154, v2, s60                                // 0000000083D0: D134009A 00007902
	v_mov_b32_e32 v155, 0                                      // 0000000083D8: 7F360280
	s_mul_i32 s60, s88, s71                                    // 0000000083DC: 923C4758
	v_add_u32_e64 v156, v2, s60                                // 0000000083E0: D134009C 00007902
	v_mov_b32_e32 v157, 0                                      // 0000000083E8: 7F3A0280
	s_mul_i32 s60, s89, s71                                    // 0000000083EC: 923C4759
	v_add_u32_e64 v158, v2, s60                                // 0000000083F0: D134009E 00007902
	v_mov_b32_e32 v159, 0                                      // 0000000083F8: 7F3E0280
	buffer_load_dword v25, v10, s[16:19], 0 offen              // 0000000083FC: E0501000 8004190A
	buffer_load_dword v26, v11, s[16:19], 0 offen              // 000000008404: E0501000 80041A0B
	buffer_load_dword v27, v10, s[16:19], 0 offen offset:256   // 00000000840C: E0501100 80041B0A
	buffer_load_dword v28, v11, s[16:19], 0 offen offset:256   // 000000008414: E0501100 80041C0B
	v_mov_b32_e32 v43, 0x358637bd                              // 00000000841C: 7E5602FF 358637BD
	v_mov_b32_e32 v44, 0x358637bd                              // 000000008424: 7E5802FF 358637BD
	v_max3_f32 v43, |v64|, |v65|, v43                          // 00000000842C: D1D3032B 04AE8340
	v_max3_f32 v43, |v66|, |v67|, v43                          // 000000008434: D1D3032B 04AE8742
	v_max3_f32 v43, |v68|, |v69|, v43                          // 00000000843C: D1D3032B 04AE8B44
	v_max3_f32 v43, |v70|, |v71|, v43                          // 000000008444: D1D3032B 04AE8F46
	v_max3_f32 v44, |v96|, |v97|, v44                          // 00000000844C: D1D3032C 04B2C360
	v_max3_f32 v44, |v98|, |v99|, v44                          // 000000008454: D1D3032C 04B2C762
	v_max3_f32 v44, |v100|, |v101|, v44                        // 00000000845C: D1D3032C 04B2CB64
	v_max3_f32 v44, |v102|, |v103|, v44                        // 000000008464: D1D3032C 04B2CF66
	v_mov_b32_e32 v2, v43                                      // 00000000846C: 7E04032B
	s_nop 1                                                    // 000000008470: BF800001
	v_permlane32_swap_b32_e32 v2, v43                          // 000000008474: 7E04B52B
	v_max_f32_e32 v43, v2, v43                                 // 000000008478: 16565702
	v_mov_b32_e32 v2, v43                                      // 00000000847C: 7E04032B
	s_nop 1                                                    // 000000008480: BF800001
	v_permlane16_swap_b32_e32 v2, v43                          // 000000008484: 7E04B32B
	v_max_f32_e32 v43, v2, v43                                 // 000000008488: 16565702
	v_mov_b32_e32 v2, v44                                      // 00000000848C: 7E04032C
	s_nop 1                                                    // 000000008490: BF800001
	v_permlane32_swap_b32_e32 v2, v44                          // 000000008494: 7E04B52C
	v_max_f32_e32 v44, v2, v44                                 // 000000008498: 16585902
	v_mov_b32_e32 v2, v44                                      // 00000000849C: 7E04032C
	s_nop 1                                                    // 0000000084A0: BF800001
	v_permlane16_swap_b32_e32 v2, v44                          // 0000000084A4: 7E04B32C
	v_max_f32_e32 v44, v2, v44                                 // 0000000084A8: 16585902
	v_mov_b32_e32 v2, 0x3e800000                               // 0000000084AC: 7E0402FF 3E800000
	v_mul_f32_e32 v43, v2, v43                                 // 0000000084B4: 0A565702
	v_mul_f32_e32 v44, v2, v44                                 // 0000000084B8: 0A585902
	v_mov_b32_e32 v1, 0x7fff0000                               // 0000000084BC: 7E0202FF 7FFF0000
	v_mov_b32_e32 v5, 0x7fbfffff                               // 0000000084C4: 7E0A02FF 7FBFFFFF
	v_bfe_u32 v2, v43, 22, 1                                   // 0000000084CC: D1C80002 02052D2B
	v_and_b32_e32 v3, v43, v5                                  // 0000000084D4: 26060B2B
	v_cmp_eq_u32_e64 s[60:61], v3, 0                           // 0000000084D8: D0CA003C 00010103
	v_cndmask_b32_e64 v4, 1, 0, s[60:61]                       // 0000000084E0: D1000004 00F10081
	v_and_b32_e32 v4, v4, v2                                   // 0000000084E8: 26080504
	v_bfe_u32 v5, v43, 23, 8                                   // 0000000084EC: D1C80005 02212F2B
	v_add_u32_e32 v5, v5, v4                                   // 0000000084F4: 680A0905
	v_cmp_u_f32_e64 s[60:61], v43, v43                         // 0000000084F8: D048003C 0002572B
	v_lshlrev_b32_e32 v43, 23, v5                              // 000000008500: 24560A97
	v_cndmask_b32_e64 v43, v43, v1, s[60:61]                   // 000000008504: D100002B 00F2032B
	v_mov_b32_e32 v5, 0x7fbfffff                               // 00000000850C: 7E0A02FF 7FBFFFFF
	v_bfe_u32 v2, v44, 22, 1                                   // 000000008514: D1C80002 02052D2C
	v_and_b32_e32 v3, v44, v5                                  // 00000000851C: 26060B2C
	v_cmp_eq_u32_e64 s[60:61], v3, 0                           // 000000008520: D0CA003C 00010103
	v_cndmask_b32_e64 v4, 1, 0, s[60:61]                       // 000000008528: D1000004 00F10081
	v_and_b32_e32 v4, v4, v2                                   // 000000008530: 26080504
	v_bfe_u32 v5, v44, 23, 8                                   // 000000008534: D1C80005 02212F2C
	v_add_u32_e32 v5, v5, v4                                   // 00000000853C: 680A0905
	v_cmp_u_f32_e64 s[60:61], v44, v44                         // 000000008540: D048003C 0002592C
	v_lshlrev_b32_e32 v44, 23, v5                              // 000000008548: 24580A97
	v_cndmask_b32_e64 v44, v44, v1, s[60:61]                   // 00000000854C: D100002C 00F2032C
	s_mov_b32 s60, 0xffff                                      // 000000008554: BEBC00FF 0000FFFF
	v_cvt_scalef32_pk_fp4_f32 v64, v64, v65, v43               // 00000000855C: D23D0040 04AE8340
	v_cvt_scalef32_pk_fp4_f32 v64, v66, v67, v43 op_sel:[0,0,1,0]// 000000008564: D23D2040 04AE8742
	v_cvt_scalef32_pk_fp4_f32 v68, v68, v69, v43               // 00000000856C: D23D0044 04AE8B44
	v_cvt_scalef32_pk_fp4_f32 v68, v70, v71, v43 op_sel:[0,0,1,0]// 000000008574: D23D2044 04AE8F46
	s_nop 1                                                    // 00000000857C: BF800001
	v_permlane16_swap_b32_e32 v64, v68                         // 000000008580: 7E80B344
	s_nop 1                                                    // 000000008584: BF800001
	v_and_b32_e64 v64, v64, s60                                // 000000008588: D1130040 00007940
	v_lshlrev_b32_e32 v68, 16, v68                             // 000000008590: 24888890
	v_or_b32_e32 v64, v64, v68                                 // 000000008594: 28808940
	v_mov_b32_e32 v68, v64                                     // 000000008598: 7E880340
	s_nop 1                                                    // 00000000859C: BF800001
	v_permlane32_swap_b32_e32 v64, v68                         // 0000000085A0: 7E80B544
	s_nop 1                                                    // 0000000085A4: BF800001
	v_permlane16_swap_b32_e32 v64, v68                         // 0000000085A8: 7E80B344
	s_nop 1                                                    // 0000000085AC: BF800001
	v_permlane32_swap_b32_e32 v64, v68                         // 0000000085B0: 7E80B544
	s_nop 1                                                    // 0000000085B4: BF800001
	v_cvt_scalef32_pk_fp4_f32 v96, v96, v97, v44               // 0000000085B8: D23D0060 04B2C360
	v_cvt_scalef32_pk_fp4_f32 v96, v98, v99, v44 op_sel:[0,0,1,0]// 0000000085C0: D23D2060 04B2C762
	v_cvt_scalef32_pk_fp4_f32 v100, v100, v101, v44            // 0000000085C8: D23D0064 04B2CB64
	v_cvt_scalef32_pk_fp4_f32 v100, v102, v103, v44 op_sel:[0,0,1,0]// 0000000085D0: D23D2064 04B2CF66
	s_nop 1                                                    // 0000000085D8: BF800001
	v_permlane16_swap_b32_e32 v96, v100                        // 0000000085DC: 7EC0B364
	s_nop 1                                                    // 0000000085E0: BF800001
	v_and_b32_e64 v96, v96, s60                                // 0000000085E4: D1130060 00007960
	v_lshlrev_b32_e32 v100, 16, v100                           // 0000000085EC: 24C8C890
	v_or_b32_e32 v96, v96, v100                                // 0000000085F0: 28C0C960
	v_mov_b32_e32 v100, v96                                    // 0000000085F4: 7EC80360
	s_nop 1                                                    // 0000000085F8: BF800001
	v_permlane32_swap_b32_e32 v96, v100                        // 0000000085FC: 7EC0B564
	s_nop 1                                                    // 000000008600: BF800001
	v_permlane16_swap_b32_e32 v96, v100                        // 000000008604: 7EC0B364
	s_nop 1                                                    // 000000008608: BF800001
	v_permlane32_swap_b32_e32 v96, v100                        // 00000000860C: 7EC0B564
	s_nop 1                                                    // 000000008610: BF800001
	v_mov_b32_e32 v45, 0x358637bd                              // 000000008614: 7E5A02FF 358637BD
	v_mov_b32_e32 v46, 0x358637bd                              // 00000000861C: 7E5C02FF 358637BD
	v_max3_f32 v45, |v72|, |v73|, v45                          // 000000008624: D1D3032D 04B69348
	v_max3_f32 v45, |v74|, |v75|, v45                          // 00000000862C: D1D3032D 04B6974A
	v_max3_f32 v45, |v76|, |v77|, v45                          // 000000008634: D1D3032D 04B69B4C
	v_max3_f32 v45, |v78|, |v79|, v45                          // 00000000863C: D1D3032D 04B69F4E
	v_max3_f32 v46, |v104|, |v105|, v46                        // 000000008644: D1D3032E 04BAD368
	v_max3_f32 v46, |v106|, |v107|, v46                        // 00000000864C: D1D3032E 04BAD76A
	v_max3_f32 v46, |v108|, |v109|, v46                        // 000000008654: D1D3032E 04BADB6C
	v_max3_f32 v46, |v110|, |v111|, v46                        // 00000000865C: D1D3032E 04BADF6E
	v_mov_b32_e32 v2, v45                                      // 000000008664: 7E04032D
	s_nop 1                                                    // 000000008668: BF800001
	v_permlane32_swap_b32_e32 v2, v45                          // 00000000866C: 7E04B52D
	v_max_f32_e32 v45, v2, v45                                 // 000000008670: 165A5B02
	v_mov_b32_e32 v2, v45                                      // 000000008674: 7E04032D
	s_nop 1                                                    // 000000008678: BF800001
	v_permlane16_swap_b32_e32 v2, v45                          // 00000000867C: 7E04B32D
	v_max_f32_e32 v45, v2, v45                                 // 000000008680: 165A5B02
	v_mov_b32_e32 v2, v46                                      // 000000008684: 7E04032E
	s_nop 1                                                    // 000000008688: BF800001
	v_permlane32_swap_b32_e32 v2, v46                          // 00000000868C: 7E04B52E
	v_max_f32_e32 v46, v2, v46                                 // 000000008690: 165C5D02
	v_mov_b32_e32 v2, v46                                      // 000000008694: 7E04032E
	s_nop 1                                                    // 000000008698: BF800001
	v_permlane16_swap_b32_e32 v2, v46                          // 00000000869C: 7E04B32E
	v_max_f32_e32 v46, v2, v46                                 // 0000000086A0: 165C5D02
	v_mov_b32_e32 v2, 0x3e800000                               // 0000000086A4: 7E0402FF 3E800000
	v_mul_f32_e32 v45, v2, v45                                 // 0000000086AC: 0A5A5B02
	v_mul_f32_e32 v46, v2, v46                                 // 0000000086B0: 0A5C5D02
	v_mov_b32_e32 v1, 0x7fff0000                               // 0000000086B4: 7E0202FF 7FFF0000
	v_mov_b32_e32 v5, 0x7fbfffff                               // 0000000086BC: 7E0A02FF 7FBFFFFF
	v_bfe_u32 v2, v45, 22, 1                                   // 0000000086C4: D1C80002 02052D2D
	v_and_b32_e32 v3, v45, v5                                  // 0000000086CC: 26060B2D
	v_cmp_eq_u32_e64 s[60:61], v3, 0                           // 0000000086D0: D0CA003C 00010103
	v_cndmask_b32_e64 v4, 1, 0, s[60:61]                       // 0000000086D8: D1000004 00F10081
	v_and_b32_e32 v4, v4, v2                                   // 0000000086E0: 26080504
	v_bfe_u32 v5, v45, 23, 8                                   // 0000000086E4: D1C80005 02212F2D
	v_add_u32_e32 v5, v5, v4                                   // 0000000086EC: 680A0905
	v_cmp_u_f32_e64 s[60:61], v45, v45                         // 0000000086F0: D048003C 00025B2D
	v_lshlrev_b32_e32 v45, 23, v5                              // 0000000086F8: 245A0A97
	v_cndmask_b32_e64 v45, v45, v1, s[60:61]                   // 0000000086FC: D100002D 00F2032D
	v_mov_b32_e32 v5, 0x7fbfffff                               // 000000008704: 7E0A02FF 7FBFFFFF
	v_bfe_u32 v2, v46, 22, 1                                   // 00000000870C: D1C80002 02052D2E
	v_and_b32_e32 v3, v46, v5                                  // 000000008714: 26060B2E
	v_cmp_eq_u32_e64 s[60:61], v3, 0                           // 000000008718: D0CA003C 00010103
	v_cndmask_b32_e64 v4, 1, 0, s[60:61]                       // 000000008720: D1000004 00F10081
	v_and_b32_e32 v4, v4, v2                                   // 000000008728: 26080504
	v_bfe_u32 v5, v46, 23, 8                                   // 00000000872C: D1C80005 02212F2E
	v_add_u32_e32 v5, v5, v4                                   // 000000008734: 680A0905
	v_cmp_u_f32_e64 s[60:61], v46, v46                         // 000000008738: D048003C 00025D2E
	v_lshlrev_b32_e32 v46, 23, v5                              // 000000008740: 245C0A97
	v_cndmask_b32_e64 v46, v46, v1, s[60:61]                   // 000000008744: D100002E 00F2032E
	s_mov_b32 s60, 0xffff                                      // 00000000874C: BEBC00FF 0000FFFF
	v_cvt_scalef32_pk_fp4_f32 v72, v72, v73, v45               // 000000008754: D23D0048 04B69348
	v_cvt_scalef32_pk_fp4_f32 v72, v74, v75, v45 op_sel:[0,0,1,0]// 00000000875C: D23D2048 04B6974A
	v_cvt_scalef32_pk_fp4_f32 v76, v76, v77, v45               // 000000008764: D23D004C 04B69B4C
	v_cvt_scalef32_pk_fp4_f32 v76, v78, v79, v45 op_sel:[0,0,1,0]// 00000000876C: D23D204C 04B69F4E
	s_nop 1                                                    // 000000008774: BF800001
	v_permlane16_swap_b32_e32 v72, v76                         // 000000008778: 7E90B34C
	s_nop 1                                                    // 00000000877C: BF800001
	v_and_b32_e64 v72, v72, s60                                // 000000008780: D1130048 00007948
	v_lshlrev_b32_e32 v76, 16, v76                             // 000000008788: 24989890
	v_or_b32_e32 v72, v72, v76                                 // 00000000878C: 28909948
	v_mov_b32_e32 v76, v72                                     // 000000008790: 7E980348
	s_nop 1                                                    // 000000008794: BF800001
	v_permlane32_swap_b32_e32 v72, v76                         // 000000008798: 7E90B54C
	s_nop 1                                                    // 00000000879C: BF800001
	v_permlane16_swap_b32_e32 v72, v76                         // 0000000087A0: 7E90B34C
	s_nop 1                                                    // 0000000087A4: BF800001
	v_permlane32_swap_b32_e32 v72, v76                         // 0000000087A8: 7E90B54C
	s_nop 1                                                    // 0000000087AC: BF800001
	v_cvt_scalef32_pk_fp4_f32 v104, v104, v105, v46            // 0000000087B0: D23D0068 04BAD368
	v_cvt_scalef32_pk_fp4_f32 v104, v106, v107, v46 op_sel:[0,0,1,0]// 0000000087B8: D23D2068 04BAD76A
	v_cvt_scalef32_pk_fp4_f32 v108, v108, v109, v46            // 0000000087C0: D23D006C 04BADB6C
	v_cvt_scalef32_pk_fp4_f32 v108, v110, v111, v46 op_sel:[0,0,1,0]// 0000000087C8: D23D206C 04BADF6E
	s_nop 1                                                    // 0000000087D0: BF800001
	v_permlane16_swap_b32_e32 v104, v108                       // 0000000087D4: 7ED0B36C
	s_nop 1                                                    // 0000000087D8: BF800001
	v_and_b32_e64 v104, v104, s60                              // 0000000087DC: D1130068 00007968
	v_lshlrev_b32_e32 v108, 16, v108                           // 0000000087E4: 24D8D890
	v_or_b32_e32 v104, v104, v108                              // 0000000087E8: 28D0D968
	v_mov_b32_e32 v108, v104                                   // 0000000087EC: 7ED80368
	s_nop 1                                                    // 0000000087F0: BF800001
	v_permlane32_swap_b32_e32 v104, v108                       // 0000000087F4: 7ED0B56C
	s_nop 1                                                    // 0000000087F8: BF800001
	v_permlane16_swap_b32_e32 v104, v108                       // 0000000087FC: 7ED0B36C
	s_nop 1                                                    // 000000008800: BF800001
	v_permlane32_swap_b32_e32 v104, v108                       // 000000008804: 7ED0B56C
	s_nop 1                                                    // 000000008808: BF800001
	v_mov_b32_e32 v47, 0x358637bd                              // 00000000880C: 7E5E02FF 358637BD
	v_mov_b32_e32 v48, 0x358637bd                              // 000000008814: 7E6002FF 358637BD
	v_max3_f32 v47, |v80|, |v81|, v47                          // 00000000881C: D1D3032F 04BEA350
	v_max3_f32 v47, |v82|, |v83|, v47                          // 000000008824: D1D3032F 04BEA752
	v_max3_f32 v47, |v84|, |v85|, v47                          // 00000000882C: D1D3032F 04BEAB54
	v_max3_f32 v47, |v86|, |v87|, v47                          // 000000008834: D1D3032F 04BEAF56
	v_max3_f32 v48, |v112|, |v113|, v48                        // 00000000883C: D1D30330 04C2E370
	v_max3_f32 v48, |v114|, |v115|, v48                        // 000000008844: D1D30330 04C2E772
	v_max3_f32 v48, |v116|, |v117|, v48                        // 00000000884C: D1D30330 04C2EB74
	v_max3_f32 v48, |v118|, |v119|, v48                        // 000000008854: D1D30330 04C2EF76
	v_mov_b32_e32 v2, v47                                      // 00000000885C: 7E04032F
	s_nop 1                                                    // 000000008860: BF800001
	v_permlane32_swap_b32_e32 v2, v47                          // 000000008864: 7E04B52F
	v_max_f32_e32 v47, v2, v47                                 // 000000008868: 165E5F02
	v_mov_b32_e32 v2, v47                                      // 00000000886C: 7E04032F
	s_nop 1                                                    // 000000008870: BF800001
	v_permlane16_swap_b32_e32 v2, v47                          // 000000008874: 7E04B32F
	v_max_f32_e32 v47, v2, v47                                 // 000000008878: 165E5F02
	v_mov_b32_e32 v2, v48                                      // 00000000887C: 7E040330
	s_nop 1                                                    // 000000008880: BF800001
	v_permlane32_swap_b32_e32 v2, v48                          // 000000008884: 7E04B530
	v_max_f32_e32 v48, v2, v48                                 // 000000008888: 16606102
	v_mov_b32_e32 v2, v48                                      // 00000000888C: 7E040330
	s_nop 1                                                    // 000000008890: BF800001
	v_permlane16_swap_b32_e32 v2, v48                          // 000000008894: 7E04B330
	v_max_f32_e32 v48, v2, v48                                 // 000000008898: 16606102
	v_mov_b32_e32 v2, 0x3e800000                               // 00000000889C: 7E0402FF 3E800000
	v_mul_f32_e32 v47, v2, v47                                 // 0000000088A4: 0A5E5F02
	v_mul_f32_e32 v48, v2, v48                                 // 0000000088A8: 0A606102
	v_mov_b32_e32 v1, 0x7fff0000                               // 0000000088AC: 7E0202FF 7FFF0000
	v_mov_b32_e32 v5, 0x7fbfffff                               // 0000000088B4: 7E0A02FF 7FBFFFFF
	v_bfe_u32 v2, v47, 22, 1                                   // 0000000088BC: D1C80002 02052D2F
	v_and_b32_e32 v3, v47, v5                                  // 0000000088C4: 26060B2F
	v_cmp_eq_u32_e64 s[60:61], v3, 0                           // 0000000088C8: D0CA003C 00010103
	v_cndmask_b32_e64 v4, 1, 0, s[60:61]                       // 0000000088D0: D1000004 00F10081
	v_and_b32_e32 v4, v4, v2                                   // 0000000088D8: 26080504
	v_bfe_u32 v5, v47, 23, 8                                   // 0000000088DC: D1C80005 02212F2F
	v_add_u32_e32 v5, v5, v4                                   // 0000000088E4: 680A0905
	v_cmp_u_f32_e64 s[60:61], v47, v47                         // 0000000088E8: D048003C 00025F2F
	v_lshlrev_b32_e32 v47, 23, v5                              // 0000000088F0: 245E0A97
	v_cndmask_b32_e64 v47, v47, v1, s[60:61]                   // 0000000088F4: D100002F 00F2032F
	v_mov_b32_e32 v5, 0x7fbfffff                               // 0000000088FC: 7E0A02FF 7FBFFFFF
	v_bfe_u32 v2, v48, 22, 1                                   // 000000008904: D1C80002 02052D30
	v_and_b32_e32 v3, v48, v5                                  // 00000000890C: 26060B30
	v_cmp_eq_u32_e64 s[60:61], v3, 0                           // 000000008910: D0CA003C 00010103
	v_cndmask_b32_e64 v4, 1, 0, s[60:61]                       // 000000008918: D1000004 00F10081
	v_and_b32_e32 v4, v4, v2                                   // 000000008920: 26080504
	v_bfe_u32 v5, v48, 23, 8                                   // 000000008924: D1C80005 02212F30
	v_add_u32_e32 v5, v5, v4                                   // 00000000892C: 680A0905
	v_cmp_u_f32_e64 s[60:61], v48, v48                         // 000000008930: D048003C 00026130
	v_lshlrev_b32_e32 v48, 23, v5                              // 000000008938: 24600A97
	v_cndmask_b32_e64 v48, v48, v1, s[60:61]                   // 00000000893C: D1000030 00F20330
	s_mov_b32 s60, 0xffff                                      // 000000008944: BEBC00FF 0000FFFF
	v_cvt_scalef32_pk_fp4_f32 v80, v80, v81, v47               // 00000000894C: D23D0050 04BEA350
	v_cvt_scalef32_pk_fp4_f32 v80, v82, v83, v47 op_sel:[0,0,1,0]// 000000008954: D23D2050 04BEA752
	v_cvt_scalef32_pk_fp4_f32 v84, v84, v85, v47               // 00000000895C: D23D0054 04BEAB54
	v_cvt_scalef32_pk_fp4_f32 v84, v86, v87, v47 op_sel:[0,0,1,0]// 000000008964: D23D2054 04BEAF56
	s_nop 1                                                    // 00000000896C: BF800001
	v_permlane16_swap_b32_e32 v80, v84                         // 000000008970: 7EA0B354
	s_nop 1                                                    // 000000008974: BF800001
	v_and_b32_e64 v80, v80, s60                                // 000000008978: D1130050 00007950
	v_lshlrev_b32_e32 v84, 16, v84                             // 000000008980: 24A8A890
	v_or_b32_e32 v80, v80, v84                                 // 000000008984: 28A0A950
	v_mov_b32_e32 v84, v80                                     // 000000008988: 7EA80350
	s_nop 1                                                    // 00000000898C: BF800001
	v_permlane32_swap_b32_e32 v80, v84                         // 000000008990: 7EA0B554
	s_nop 1                                                    // 000000008994: BF800001
	v_permlane16_swap_b32_e32 v80, v84                         // 000000008998: 7EA0B354
	s_nop 1                                                    // 00000000899C: BF800001
	v_permlane32_swap_b32_e32 v80, v84                         // 0000000089A0: 7EA0B554
	s_nop 1                                                    // 0000000089A4: BF800001
	v_cvt_scalef32_pk_fp4_f32 v112, v112, v113, v48            // 0000000089A8: D23D0070 04C2E370
	v_cvt_scalef32_pk_fp4_f32 v112, v114, v115, v48 op_sel:[0,0,1,0]// 0000000089B0: D23D2070 04C2E772
	v_cvt_scalef32_pk_fp4_f32 v116, v116, v117, v48            // 0000000089B8: D23D0074 04C2EB74
	v_cvt_scalef32_pk_fp4_f32 v116, v118, v119, v48 op_sel:[0,0,1,0]// 0000000089C0: D23D2074 04C2EF76
	s_nop 1                                                    // 0000000089C8: BF800001
	v_permlane16_swap_b32_e32 v112, v116                       // 0000000089CC: 7EE0B374
	s_nop 1                                                    // 0000000089D0: BF800001
	v_and_b32_e64 v112, v112, s60                              // 0000000089D4: D1130070 00007970
	v_lshlrev_b32_e32 v116, 16, v116                           // 0000000089DC: 24E8E890
	v_or_b32_e32 v112, v112, v116                              // 0000000089E0: 28E0E970
	v_mov_b32_e32 v116, v112                                   // 0000000089E4: 7EE80370
	s_nop 1                                                    // 0000000089E8: BF800001
	v_permlane32_swap_b32_e32 v112, v116                       // 0000000089EC: 7EE0B574
	s_nop 1                                                    // 0000000089F0: BF800001
	v_permlane16_swap_b32_e32 v112, v116                       // 0000000089F4: 7EE0B374
	s_nop 1                                                    // 0000000089F8: BF800001
	v_permlane32_swap_b32_e32 v112, v116                       // 0000000089FC: 7EE0B574
	s_nop 1                                                    // 000000008A00: BF800001
	v_mov_b32_e32 v49, 0x358637bd                              // 000000008A04: 7E6202FF 358637BD
	v_mov_b32_e32 v50, 0x358637bd                              // 000000008A0C: 7E6402FF 358637BD
	v_max3_f32 v49, |v88|, |v89|, v49                          // 000000008A14: D1D30331 04C6B358
	v_max3_f32 v49, |v90|, |v91|, v49                          // 000000008A1C: D1D30331 04C6B75A
	v_max3_f32 v49, |v92|, |v93|, v49                          // 000000008A24: D1D30331 04C6BB5C
	v_max3_f32 v49, |v94|, |v95|, v49                          // 000000008A2C: D1D30331 04C6BF5E
	v_max3_f32 v50, |v120|, |v121|, v50                        // 000000008A34: D1D30332 04CAF378
	v_max3_f32 v50, |v122|, |v123|, v50                        // 000000008A3C: D1D30332 04CAF77A
	v_max3_f32 v50, |v124|, |v125|, v50                        // 000000008A44: D1D30332 04CAFB7C
	v_max3_f32 v50, |v126|, |v127|, v50                        // 000000008A4C: D1D30332 04CAFF7E
	v_mov_b32_e32 v2, v49                                      // 000000008A54: 7E040331
	s_nop 1                                                    // 000000008A58: BF800001
	v_permlane32_swap_b32_e32 v2, v49                          // 000000008A5C: 7E04B531
	v_max_f32_e32 v49, v2, v49                                 // 000000008A60: 16626302
	v_mov_b32_e32 v2, v49                                      // 000000008A64: 7E040331
	s_nop 1                                                    // 000000008A68: BF800001
	v_permlane16_swap_b32_e32 v2, v49                          // 000000008A6C: 7E04B331
	v_max_f32_e32 v49, v2, v49                                 // 000000008A70: 16626302
	v_mov_b32_e32 v2, v50                                      // 000000008A74: 7E040332
	s_nop 1                                                    // 000000008A78: BF800001
	v_permlane32_swap_b32_e32 v2, v50                          // 000000008A7C: 7E04B532
	v_max_f32_e32 v50, v2, v50                                 // 000000008A80: 16646502
	v_mov_b32_e32 v2, v50                                      // 000000008A84: 7E040332
	s_nop 1                                                    // 000000008A88: BF800001
	v_permlane16_swap_b32_e32 v2, v50                          // 000000008A8C: 7E04B332
	v_max_f32_e32 v50, v2, v50                                 // 000000008A90: 16646502
	v_mov_b32_e32 v2, 0x3e800000                               // 000000008A94: 7E0402FF 3E800000
	v_mul_f32_e32 v49, v2, v49                                 // 000000008A9C: 0A626302
	v_mul_f32_e32 v50, v2, v50                                 // 000000008AA0: 0A646502
	v_mov_b32_e32 v1, 0x7fff0000                               // 000000008AA4: 7E0202FF 7FFF0000
	v_mov_b32_e32 v5, 0x7fbfffff                               // 000000008AAC: 7E0A02FF 7FBFFFFF
	v_bfe_u32 v2, v49, 22, 1                                   // 000000008AB4: D1C80002 02052D31
	v_and_b32_e32 v3, v49, v5                                  // 000000008ABC: 26060B31
	v_cmp_eq_u32_e64 s[60:61], v3, 0                           // 000000008AC0: D0CA003C 00010103
	v_cndmask_b32_e64 v4, 1, 0, s[60:61]                       // 000000008AC8: D1000004 00F10081
	v_and_b32_e32 v4, v4, v2                                   // 000000008AD0: 26080504
	v_bfe_u32 v5, v49, 23, 8                                   // 000000008AD4: D1C80005 02212F31
	v_add_u32_e32 v5, v5, v4                                   // 000000008ADC: 680A0905
	v_cmp_u_f32_e64 s[60:61], v49, v49                         // 000000008AE0: D048003C 00026331
	v_lshlrev_b32_e32 v49, 23, v5                              // 000000008AE8: 24620A97
	v_cndmask_b32_e64 v49, v49, v1, s[60:61]                   // 000000008AEC: D1000031 00F20331
	v_mov_b32_e32 v5, 0x7fbfffff                               // 000000008AF4: 7E0A02FF 7FBFFFFF
	v_bfe_u32 v2, v50, 22, 1                                   // 000000008AFC: D1C80002 02052D32
	v_and_b32_e32 v3, v50, v5                                  // 000000008B04: 26060B32
	v_cmp_eq_u32_e64 s[60:61], v3, 0                           // 000000008B08: D0CA003C 00010103
	v_cndmask_b32_e64 v4, 1, 0, s[60:61]                       // 000000008B10: D1000004 00F10081
	v_and_b32_e32 v4, v4, v2                                   // 000000008B18: 26080504
	v_bfe_u32 v5, v50, 23, 8                                   // 000000008B1C: D1C80005 02212F32
	v_add_u32_e32 v5, v5, v4                                   // 000000008B24: 680A0905
	v_cmp_u_f32_e64 s[60:61], v50, v50                         // 000000008B28: D048003C 00026532
	v_lshlrev_b32_e32 v50, 23, v5                              // 000000008B30: 24640A97
	v_cndmask_b32_e64 v50, v50, v1, s[60:61]                   // 000000008B34: D1000032 00F20332
	s_mov_b32 s60, 0xffff                                      // 000000008B3C: BEBC00FF 0000FFFF
	v_cvt_scalef32_pk_fp4_f32 v88, v88, v89, v49               // 000000008B44: D23D0058 04C6B358
	v_cvt_scalef32_pk_fp4_f32 v88, v90, v91, v49 op_sel:[0,0,1,0]// 000000008B4C: D23D2058 04C6B75A
	v_cvt_scalef32_pk_fp4_f32 v92, v92, v93, v49               // 000000008B54: D23D005C 04C6BB5C
	v_cvt_scalef32_pk_fp4_f32 v92, v94, v95, v49 op_sel:[0,0,1,0]// 000000008B5C: D23D205C 04C6BF5E
	s_nop 1                                                    // 000000008B64: BF800001
	v_permlane16_swap_b32_e32 v88, v92                         // 000000008B68: 7EB0B35C
	s_nop 1                                                    // 000000008B6C: BF800001
	v_and_b32_e64 v88, v88, s60                                // 000000008B70: D1130058 00007958
	v_lshlrev_b32_e32 v92, 16, v92                             // 000000008B78: 24B8B890
	v_or_b32_e32 v88, v88, v92                                 // 000000008B7C: 28B0B958
	v_mov_b32_e32 v92, v88                                     // 000000008B80: 7EB80358
	s_nop 1                                                    // 000000008B84: BF800001
	v_permlane32_swap_b32_e32 v88, v92                         // 000000008B88: 7EB0B55C
	s_nop 1                                                    // 000000008B8C: BF800001
	v_permlane16_swap_b32_e32 v88, v92                         // 000000008B90: 7EB0B35C
	s_nop 1                                                    // 000000008B94: BF800001
	v_permlane32_swap_b32_e32 v88, v92                         // 000000008B98: 7EB0B55C
	s_nop 1                                                    // 000000008B9C: BF800001
	v_cvt_scalef32_pk_fp4_f32 v120, v120, v121, v50            // 000000008BA0: D23D0078 04CAF378
	v_cvt_scalef32_pk_fp4_f32 v120, v122, v123, v50 op_sel:[0,0,1,0]// 000000008BA8: D23D2078 04CAF77A
	v_cvt_scalef32_pk_fp4_f32 v124, v124, v125, v50            // 000000008BB0: D23D007C 04CAFB7C
	v_cvt_scalef32_pk_fp4_f32 v124, v126, v127, v50 op_sel:[0,0,1,0]// 000000008BB8: D23D207C 04CAFF7E
	s_nop 1                                                    // 000000008BC0: BF800001
	v_permlane16_swap_b32_e32 v120, v124                       // 000000008BC4: 7EF0B37C
	s_nop 1                                                    // 000000008BC8: BF800001
	v_and_b32_e64 v120, v120, s60                              // 000000008BCC: D1130078 00007978
	v_lshlrev_b32_e32 v124, 16, v124                           // 000000008BD4: 24F8F890
	v_or_b32_e32 v120, v120, v124                              // 000000008BD8: 28F0F978
	v_mov_b32_e32 v124, v120                                   // 000000008BDC: 7EF80378
	s_nop 1                                                    // 000000008BE0: BF800001
	v_permlane32_swap_b32_e32 v120, v124                       // 000000008BE4: 7EF0B57C
	s_nop 1                                                    // 000000008BE8: BF800001
	v_permlane16_swap_b32_e32 v120, v124                       // 000000008BEC: 7EF0B37C
	s_nop 1                                                    // 000000008BF0: BF800001
	v_permlane32_swap_b32_e32 v120, v124                       // 000000008BF4: 7EF0B57C
	s_nop 1                                                    // 000000008BF8: BF800001
	v_lshrrev_b32_e32 v2, 5, v0                                // 000000008BFC: 20040085
	v_lshlrev_b32_e32 v3, 6, v2                                // 000000008C00: 24060486
	v_and_b32_e32 v2, 31, v0                                   // 000000008C04: 2604009F
	v_lshrrev_b32_e32 v4, 4, v2                                // 000000008C08: 20080484
	v_add_u32_e32 v3, v4, v3                                   // 000000008C0C: 68060704
	v_and_b32_e32 v2, 15, v0                                   // 000000008C10: 2604008F
	v_lshlrev_b32_e32 v2, 1, v2                                // 000000008C14: 24040481
	v_add_u32_e32 v3, v2, v3                                   // 000000008C18: 68060702
	v_lshlrev_b32_e32 v2, 2, v3                                // 000000008C1C: 24040682
	s_mov_b32 s60, 0                                           // 000000008C20: BEBC0080
	s_lshr_b32 s61, s7, 1                                      // 000000008C24: 8F3D8107
	s_mul_i32 s61, s61, 0x200                                  // 000000008C28: 923DFF3D 00000200
	s_add_u32 s60, s61, s60                                    // 000000008C30: 803C3C3D
	s_and_b32 s61, s7, 1                                       // 000000008C34: 863D8107
	s_mul_i32 s61, s61, 0x80                                   // 000000008C38: 923DFF3D 00000080
	s_add_u32 s60, s61, s60                                    // 000000008C40: 803C3C3D
	v_add_u32_e64 v2, v2, s60                                  // 000000008C44: D1340002 00007902
	ds_write_b32 v2, v64                                       // 000000008C4C: D81A0000 00004002
	ds_write_b32 v2, v72 offset:1024                           // 000000008C54: D81A0400 00004802
	ds_write_b32 v2, v80 offset:2048                           // 000000008C5C: D81A0800 00005002
	ds_write_b32 v2, v88 offset:3072                           // 000000008C64: D81A0C00 00005802
	ds_write_b32 v2, v96 offset:4096                           // 000000008C6C: D81A1000 00006002
	ds_write_b32 v2, v104 offset:5120                          // 000000008C74: D81A1400 00006802
	ds_write_b32 v2, v112 offset:6144                          // 000000008C7C: D81A1800 00007002
	ds_write_b32 v2, v120 offset:7168                          // 000000008C84: D81A1C00 00007802
	s_waitcnt lgkmcnt(0)                                       // 000000008C8C: BF8CC07F
	s_barrier                                                  // 000000008C90: BF8A0000
	v_and_b32_e32 v2, 31, v0                                   // 000000008C94: 2604009F
	v_lshrrev_b32_e32 v2, 4, v2                                // 000000008C98: 20040484
	v_lshlrev_b32_e32 v3, 5, v2                                // 000000008C9C: 24060485
	v_lshrrev_b32_e32 v2, 5, v0                                // 000000008CA0: 20040085
	v_lshlrev_b32_e32 v2, 7, v2                                // 000000008CA4: 24040487
	v_add_u32_e32 v3, v2, v3                                   // 000000008CA8: 68060702
	v_and_b32_e32 v2, 15, v0                                   // 000000008CAC: 2604008F
	v_lshlrev_b32_e32 v2, 1, v2                                // 000000008CB0: 24040481
	v_add_u32_e32 v3, v2, v3                                   // 000000008CB4: 68060702
	v_lshlrev_b32_e32 v2, 2, v3                                // 000000008CB8: 24040682
	ds_read_b64 v[64:65], v2                                   // 000000008CBC: D8EC0000 40000002
	ds_read_b64 v[66:67], v2 offset:256                        // 000000008CC4: D8EC0100 42000002
	ds_read_b64 v[68:69], v2 offset:1024                       // 000000008CCC: D8EC0400 44000002
	ds_read_b64 v[70:71], v2 offset:1280                       // 000000008CD4: D8EC0500 46000002
	ds_read_b64 v[72:73], v2 offset:2048                       // 000000008CDC: D8EC0800 48000002
	ds_read_b64 v[74:75], v2 offset:2304                       // 000000008CE4: D8EC0900 4A000002
	ds_read_b64 v[76:77], v2 offset:3072                       // 000000008CEC: D8EC0C00 4C000002
	ds_read_b64 v[78:79], v2 offset:3328                       // 000000008CF4: D8EC0D00 4E000002
	ds_read_b64 v[80:81], v2 offset:4096                       // 000000008CFC: D8EC1000 50000002
	ds_read_b64 v[82:83], v2 offset:4352                       // 000000008D04: D8EC1100 52000002
	ds_read_b64 v[84:85], v2 offset:5120                       // 000000008D0C: D8EC1400 54000002
	ds_read_b64 v[86:87], v2 offset:5376                       // 000000008D14: D8EC1500 56000002
	ds_read_b64 v[88:89], v2 offset:6144                       // 000000008D1C: D8EC1800 58000002
	ds_read_b64 v[90:91], v2 offset:6400                       // 000000008D24: D8EC1900 5A000002
	ds_read_b64 v[92:93], v2 offset:7168                       // 000000008D2C: D8EC1C00 5C000002
	ds_read_b64 v[94:95], v2 offset:7424                       // 000000008D34: D8EC1D00 5E000002
	s_waitcnt lgkmcnt(0)                                       // 000000008D3C: BF8CC07F
	s_barrier                                                  // 000000008D40: BF8A0000
	v_lshrrev_b32_e32 v2, 5, v0                                // 000000008D44: 20040085
	v_lshlrev_b32_e32 v3, 6, v2                                // 000000008D48: 24060486
	v_and_b32_e32 v2, 31, v0                                   // 000000008D4C: 2604009F
	v_lshrrev_b32_e32 v4, 4, v2                                // 000000008D50: 20080484
	v_add_u32_e32 v3, v4, v3                                   // 000000008D54: 68060704
	v_and_b32_e32 v2, 15, v0                                   // 000000008D58: 2604008F
	v_lshlrev_b32_e32 v2, 1, v2                                // 000000008D5C: 24040481
	v_add_u32_e32 v3, v2, v3                                   // 000000008D60: 68060702
	v_lshlrev_b32_e32 v2, 2, v3                                // 000000008D64: 24040682
	s_mov_b32 s60, 0                                           // 000000008D68: BEBC0080
	s_lshr_b32 s61, s7, 1                                      // 000000008D6C: 8F3D8107
	s_mul_i32 s61, s61, 0x200                                  // 000000008D70: 923DFF3D 00000200
	s_add_u32 s60, s61, s60                                    // 000000008D78: 803C3C3D
	s_and_b32 s61, s7, 1                                       // 000000008D7C: 863D8107
	s_mul_i32 s61, s61, 0x80                                   // 000000008D80: 923DFF3D 00000080
	s_add_u32 s60, s61, s60                                    // 000000008D88: 803C3C3D
	v_add_u32_e64 v2, v2, s60                                  // 000000008D8C: D1340002 00007902
	ds_write_b32 v2, v43                                       // 000000008D94: D81A0000 00002B02
	ds_write_b32 v2, v45 offset:1024                           // 000000008D9C: D81A0400 00002D02
	ds_write_b32 v2, v47 offset:2048                           // 000000008DA4: D81A0800 00002F02
	ds_write_b32 v2, v49 offset:3072                           // 000000008DAC: D81A0C00 00003102
	ds_write_b32 v2, v44 offset:4096                           // 000000008DB4: D81A1000 00002C02
	ds_write_b32 v2, v46 offset:5120                           // 000000008DBC: D81A1400 00002E02
	ds_write_b32 v2, v48 offset:6144                           // 000000008DC4: D81A1800 00003002
	ds_write_b32 v2, v50 offset:7168                           // 000000008DCC: D81A1C00 00003202
	s_waitcnt lgkmcnt(0)                                       // 000000008DD4: BF8CC07F
	s_barrier                                                  // 000000008DD8: BF8A0000
	v_and_b32_e32 v2, 31, v0                                   // 000000008DDC: 2604009F
	v_lshrrev_b32_e32 v2, 4, v2                                // 000000008DE0: 20040484
	v_lshlrev_b32_e32 v3, 5, v2                                // 000000008DE4: 24060485
	v_lshrrev_b32_e32 v2, 5, v0                                // 000000008DE8: 20040085
	v_lshlrev_b32_e32 v2, 7, v2                                // 000000008DEC: 24040487
	v_add_u32_e32 v3, v2, v3                                   // 000000008DF0: 68060702
	v_and_b32_e32 v2, 15, v0                                   // 000000008DF4: 2604008F
	v_lshlrev_b32_e32 v2, 1, v2                                // 000000008DF8: 24040481
	v_add_u32_e32 v3, v2, v3                                   // 000000008DFC: 68060702
	v_lshlrev_b32_e32 v2, 2, v3                                // 000000008E00: 24040682
	ds_read_b32 v43, v2                                        // 000000008E04: D86C0000 2B000002
	ds_read_b32 v45, v2 offset:1024                            // 000000008E0C: D86C0400 2D000002
	ds_read_b32 v47, v2 offset:2048                            // 000000008E14: D86C0800 2F000002
	ds_read_b32 v49, v2 offset:3072                            // 000000008E1C: D86C0C00 31000002
	ds_read_b32 v44, v2 offset:4096                            // 000000008E24: D86C1000 2C000002
	ds_read_b32 v46, v2 offset:5120                            // 000000008E2C: D86C1400 2E000002
	ds_read_b32 v48, v2 offset:6144                            // 000000008E34: D86C1800 30000002
	ds_read_b32 v50, v2 offset:7168                            // 000000008E3C: D86C1C00 32000002
	s_waitcnt lgkmcnt(0)                                       // 000000008E44: BF8CC07F
	s_barrier                                                  // 000000008E48: BF8A0000
	v_bfe_u32 v43, v43, 23, 8                                  // 000000008E4C: D1C8002B 02212F2B
	v_bfe_u32 v44, v44, 23, 8                                  // 000000008E54: D1C8002C 02212F2C
	v_bfe_u32 v45, v45, 23, 8                                  // 000000008E5C: D1C8002D 02212F2D
	v_bfe_u32 v46, v46, 23, 8                                  // 000000008E64: D1C8002E 02212F2E
	v_bfe_u32 v47, v47, 23, 8                                  // 000000008E6C: D1C8002F 02212F2F
	v_bfe_u32 v48, v48, 23, 8                                  // 000000008E74: D1C80030 02212F30
	v_bfe_u32 v49, v49, 23, 8                                  // 000000008E7C: D1C80031 02212F31
	v_bfe_u32 v50, v50, 23, 8                                  // 000000008E84: D1C80032 02212F32
	v_mov_b32_e32 v2, 0                                        // 000000008E8C: 7E040280
	v_lshlrev_b32_e32 v43, 0, v43                              // 000000008E90: 24565680
	v_or_b32_e32 v2, v2, v43                                   // 000000008E94: 28045702
	v_lshlrev_b32_e32 v44, 8, v44                              // 000000008E98: 24585888
	v_or_b32_e32 v2, v2, v44                                   // 000000008E9C: 28045902
	v_lshlrev_b32_e32 v45, 16, v45                             // 000000008EA0: 245A5A90
	v_or_b32_e32 v2, v2, v45                                   // 000000008EA4: 28045B02
	v_lshlrev_b32_e32 v46, 24, v46                             // 000000008EA8: 245C5C98
	v_or_b32_e32 v2, v2, v46                                   // 000000008EAC: 28045D02
	v_mov_b32_e32 v43, v2                                      // 000000008EB0: 7E560302
	v_mov_b32_e32 v2, 0                                        // 000000008EB4: 7E040280
	v_lshlrev_b32_e32 v47, 0, v47                              // 000000008EB8: 245E5E80
	v_or_b32_e32 v2, v2, v47                                   // 000000008EBC: 28045F02
	v_lshlrev_b32_e32 v48, 8, v48                              // 000000008EC0: 24606088
	v_or_b32_e32 v2, v2, v48                                   // 000000008EC4: 28046102
	v_lshlrev_b32_e32 v49, 16, v49                             // 000000008EC8: 24626290
	v_or_b32_e32 v2, v2, v49                                   // 000000008ECC: 28046302
	v_lshlrev_b32_e32 v50, 24, v50                             // 000000008ED0: 24646498
	v_or_b32_e32 v2, v2, v50                                   // 000000008ED4: 28046502
	v_mov_b32_e32 v44, v2                                      // 000000008ED8: 7E580302
	s_add_u32 s12, s56, s12                                    // 000000008EDC: 800C0C38
	s_addc_u32 s13, 0, s13                                     // 000000008EE0: 820D0D80
	s_add_u32 s16, s79, s16                                    // 000000008EE4: 8010104F
	s_addc_u32 s17, 0, s17                                     // 000000008EE8: 82111180
	s_waitcnt lgkmcnt(0)                                       // 000000008EEC: BF8CC07F
	s_barrier                                                  // 000000008EF0: BF8A0000
	v_mov_b32_e32 v160, 0                                      // 000000008EF4: 7F400280
	v_mov_b32_e32 v192, 0                                      // 000000008EF8: 7F800280
	v_mov_b32_e32 v161, 0                                      // 000000008EFC: 7F420280
	v_mov_b32_e32 v193, 0                                      // 000000008F00: 7F820280
	v_mov_b32_e32 v162, 0                                      // 000000008F04: 7F440280
	v_mov_b32_e32 v194, 0                                      // 000000008F08: 7F840280
	v_mov_b32_e32 v163, 0                                      // 000000008F0C: 7F460280
	v_mov_b32_e32 v195, 0                                      // 000000008F10: 7F860280
	v_mov_b32_e32 v164, 0                                      // 000000008F14: 7F480280
	v_mov_b32_e32 v196, 0                                      // 000000008F18: 7F880280
	v_mov_b32_e32 v165, 0                                      // 000000008F1C: 7F4A0280
	v_mov_b32_e32 v197, 0                                      // 000000008F20: 7F8A0280
	v_mov_b32_e32 v166, 0                                      // 000000008F24: 7F4C0280
	v_mov_b32_e32 v198, 0                                      // 000000008F28: 7F8C0280
	v_mov_b32_e32 v167, 0                                      // 000000008F2C: 7F4E0280
	v_mov_b32_e32 v199, 0                                      // 000000008F30: 7F8E0280
	v_mov_b32_e32 v168, 0                                      // 000000008F34: 7F500280
	v_mov_b32_e32 v200, 0                                      // 000000008F38: 7F900280
	v_mov_b32_e32 v169, 0                                      // 000000008F3C: 7F520280
	v_mov_b32_e32 v201, 0                                      // 000000008F40: 7F920280
	v_mov_b32_e32 v170, 0                                      // 000000008F44: 7F540280
	v_mov_b32_e32 v202, 0                                      // 000000008F48: 7F940280
	v_mov_b32_e32 v171, 0                                      // 000000008F4C: 7F560280
	v_mov_b32_e32 v203, 0                                      // 000000008F50: 7F960280
	v_mov_b32_e32 v172, 0                                      // 000000008F54: 7F580280
	v_mov_b32_e32 v204, 0                                      // 000000008F58: 7F980280
	v_mov_b32_e32 v173, 0                                      // 000000008F5C: 7F5A0280
	v_mov_b32_e32 v205, 0                                      // 000000008F60: 7F9A0280
	v_mov_b32_e32 v174, 0                                      // 000000008F64: 7F5C0280
	v_mov_b32_e32 v206, 0                                      // 000000008F68: 7F9C0280
	v_mov_b32_e32 v175, 0                                      // 000000008F6C: 7F5E0280
	v_mov_b32_e32 v207, 0                                      // 000000008F70: 7F9E0280
	ds_write_b64 v8, v[160:161]                                // 000000008F74: D89A0000 0000A008
	ds_write_b64 v8, v[162:163] offset:8704                    // 000000008F7C: D89A2200 0000A208
	ds_write_b64 v8, v[164:165] offset:544                     // 000000008F84: D89A0220 0000A408
	ds_write_b64 v8, v[166:167] offset:9248                    // 000000008F8C: D89A2420 0000A608
	ds_write_b64 v8, v[168:169] offset:4352                    // 000000008F94: D89A1100 0000A808
	ds_write_b64 v8, v[170:171] offset:13056                   // 000000008F9C: D89A3300 0000AA08
	ds_write_b64 v8, v[172:173] offset:4896                    // 000000008FA4: D89A1320 0000AC08
	ds_write_b64 v8, v[174:175] offset:13600                   // 000000008FAC: D89A3520 0000AE08
	s_mov_b32 s80, 0                                           // 000000008FB4: BED00080
	s_waitcnt vmcnt(0) expcnt(0) lgkmcnt(0)                    // 000000008FB8: BF8C0000

0000000000008fbc <label_186F>:
	s_waitcnt vmcnt(14) lgkmcnt(0)                             // 000000008FBC: BF8C007E
	s_barrier                                                  // 000000008FC0: BF8A0000
	v_mfma_scale_f32_16x16x128_f8f6f4 v[160:163], a[0:3], v[64:67], 0, v25, v43 op_sel_hi:[0,0,0] cbsz:4 blgp:4// 000000008FC4: D3AC6000 00025719 D3AD0CA0 8A028100
	buffer_load_dwordx4 a[64:67], v60, s[12:15], 0 offen       // 000000008FD4: E05C1000 8083403C
	v_mfma_scale_f32_16x16x128_f8f6f4 v[164:167], a[0:3], v[80:83], 0, v25, v43 op_sel_hi:[0,0,0] cbsz:4 blgp:4// 000000008FDC: D3AC7000 00025719 D3AD0CA4 8A02A100
	ds_read_b32 v128, v9                                       // 000000008FEC: D86C0000 80000009
	ds_read_b32 v129, v9 offset:4352                           // 000000008FF4: D86C1100 81000009
	ds_read_b32 v130, v9 offset:8                              // 000000008FFC: D86C0008 82000009
	ds_read_b32 v131, v9 offset:4360                           // 000000009004: D86C1108 83000009
	v_mfma_scale_f32_16x16x128_f8f6f4 v[168:171], a[4:7], v[64:67], 0, v25, v43 op_sel_hi:[0,0,0] cbsz:4 blgp:4// 00000000900C: D3AC6800 00025719 D3AD0CA8 8A028104
	buffer_load_dwordx4 a[68:71], v61, s[12:15], 0 offen       // 00000000901C: E05C1000 8083443D
	buffer_load_dword v29, v10, s[16:19], 0 offen              // 000000009024: E0501000 80041D0A
	buffer_load_dword v30, v11, s[16:19], 0 offen              // 00000000902C: E0501000 80041E0B
	buffer_load_dword v31, v10, s[16:19], 0 offen offset:256   // 000000009034: E0501100 80041F0A
	buffer_load_dword v32, v11, s[16:19], 0 offen offset:256   // 00000000903C: E0501100 8004200B
	v_mfma_scale_f32_16x16x128_f8f6f4 v[172:175], a[4:7], v[80:83], 0, v25, v43 op_sel_hi:[0,0,0] cbsz:4 blgp:4// 000000009044: D3AC7800 00025719 D3AD0CAC 8A02A104
	ds_read_b32 v132, v9 offset:32                             // 000000009054: D86C0020 84000009
	ds_read_b32 v133, v9 offset:4384                           // 00000000905C: D86C1120 85000009
	ds_read_b32 v134, v9 offset:40                             // 000000009064: D86C0028 86000009
	ds_read_b32 v135, v9 offset:4392                           // 00000000906C: D86C1128 87000009
	s_waitcnt vmcnt(18)                                        // 000000009074: BF8C4F72
	v_mfma_scale_f32_16x16x128_f8f6f4 v[176:179], a[8:11], v[64:67], 0, v26, v43 op_sel_hi:[0,0,0] cbsz:4 blgp:4// 000000009078: D3AC6000 0002571A D3AD0CB0 8A028108
	buffer_load_dwordx4 a[72:75], v62, s[12:15], 0 offen       // 000000009088: E05C1000 8083483E
	v_mfma_scale_f32_16x16x128_f8f6f4 v[180:183], a[8:11], v[80:83], 0, v26, v43 op_sel_hi:[0,0,0] cbsz:4 blgp:4// 000000009090: D3AC7000 0002571A D3AD0CB4 8A02A108
	ds_read_b32 v136, v9 offset:8704                           // 0000000090A0: D86C2200 88000009
	ds_read_b32 v137, v9 offset:13056                          // 0000000090A8: D86C3300 89000009
	ds_read_b32 v138, v9 offset:8712                           // 0000000090B0: D86C2208 8A000009
	ds_read_b32 v139, v9 offset:13064                          // 0000000090B8: D86C3308 8B000009
	v_mfma_scale_f32_16x16x128_f8f6f4 v[184:187], a[12:15], v[64:67], 0, v26, v43 op_sel_hi:[0,0,0] cbsz:4 blgp:4// 0000000090C0: D3AC6800 0002571A D3AD0CB8 8A02810C
	buffer_load_dwordx4 a[76:79], v63, s[12:15], 0 offen       // 0000000090D0: E05C1000 80834C3F
	buffer_load_dword v31, v10, s[16:19], 0 offen offset:256   // 0000000090D8: E0501100 80041F0A
	buffer_load_dword v32, v11, s[16:19], 0 offen offset:256   // 0000000090E0: E0501100 8004200B
	v_mfma_scale_f32_16x16x128_f8f6f4 v[188:191], a[12:15], v[80:83], 0, v26, v43 op_sel_hi:[0,0,0] cbsz:4 blgp:4// 0000000090E8: D3AC7800 0002571A D3AD0CBC 8A02A10C
	ds_read_b32 v140, v9 offset:8736                           // 0000000090F8: D86C2220 8C000009
	ds_read_b32 v141, v9 offset:13088                          // 000000009100: D86C3320 8D000009
	ds_read_b32 v142, v9 offset:8744                           // 000000009108: D86C2228 8E000009
	ds_read_b32 v143, v9 offset:13096                          // 000000009110: D86C3328 8F000009
	s_waitcnt vmcnt(18)                                        // 000000009118: BF8C4F72
	v_mfma_scale_f32_16x16x128_f8f6f4 v[160:163], a[16:19], v[68:71], v[160:163], v25, v43 op_sel_hi:[0,0,0] cbsz:4 blgp:4// 00000000911C: D3AC6000 18025719 D3AD0CA0 8E828910
	buffer_load_dwordx4 a[80:83], v60, s[12:15], 0 offen offset:1024// 00000000912C: E05C1400 8083503C
	v_mfma_scale_f32_16x16x128_f8f6f4 v[164:167], a[16:19], v[84:87], v[164:167], v25, v43 op_sel_hi:[0,0,0] cbsz:4 blgp:4// 000000009134: D3AC7000 18025719 D3AD0CA4 8E92A910
	ds_write_b64 v8, v[192:193] offset:17408                   // 000000009144: D89A4400 0000C008
	ds_write_b64 v8, v[194:195] offset:26112                   // 00000000914C: D89A6600 0000C208
	v_mfma_scale_f32_16x16x128_f8f6f4 v[168:171], a[20:23], v[68:71], v[168:171], v25, v43 op_sel_hi:[0,0,0] cbsz:4 blgp:4// 000000009154: D3AC6800 18025719 D3AD0CA8 8EA28914
	buffer_load_dwordx4 a[84:87], v61, s[12:15], 0 offen offset:1024// 000000009164: E05C1400 8083543D
	v_mfma_scale_f32_16x16x128_f8f6f4 v[172:175], a[20:23], v[84:87], v[172:175], v25, v43 op_sel_hi:[0,0,0] cbsz:4 blgp:4// 00000000916C: D3AC7800 18025719 D3AD0CAC 8EB2A914
	ds_write_b64 v8, v[196:197] offset:17952                   // 00000000917C: D89A4620 0000C408
	ds_write_b64 v8, v[198:199] offset:26656                   // 000000009184: D89A6820 0000C608
	s_waitcnt vmcnt(18)                                        // 00000000918C: BF8C4F72
	v_mfma_scale_f32_16x16x128_f8f6f4 v[176:179], a[24:27], v[68:71], v[176:179], v26, v43 op_sel_hi:[0,0,0] cbsz:4 blgp:4// 000000009190: D3AC6000 1802571A D3AD0CB0 8EC28918
	buffer_load_dwordx4 a[88:91], v62, s[12:15], 0 offen offset:1024// 0000000091A0: E05C1400 8083583E
	v_mfma_scale_f32_16x16x128_f8f6f4 v[180:183], a[24:27], v[84:87], v[180:183], v26, v43 op_sel_hi:[0,0,0] cbsz:4 blgp:4// 0000000091A8: D3AC7000 1802571A D3AD0CB4 8ED2A918
	ds_write_b64 v8, v[200:201] offset:21760                   // 0000000091B8: D89A5500 0000C808
	ds_write_b64 v8, v[202:203] offset:30464                   // 0000000091C0: D89A7700 0000CA08
	v_mfma_scale_f32_16x16x128_f8f6f4 v[184:187], a[28:31], v[68:71], v[184:187], v26, v43 op_sel_hi:[0,0,0] cbsz:4 blgp:4// 0000000091C8: D3AC6800 1802571A D3AD0CB8 8EE2891C
	buffer_load_dwordx4 a[92:95], v63, s[12:15], 0 offen offset:1024// 0000000091D8: E05C1400 80835C3F
	v_mfma_scale_f32_16x16x128_f8f6f4 v[188:191], a[28:31], v[84:87], v[188:191], v26, v43 op_sel_hi:[0,0,0] cbsz:4 blgp:4// 0000000091E0: D3AC7800 1802571A D3AD0CBC 8EF2A91C
	ds_write_b64 v8, v[204:205] offset:22304                   // 0000000091F0: D89A5720 0000CC08
	ds_write_b64 v8, v[206:207] offset:31008                   // 0000000091F8: D89A7920 0000CE08
	s_waitcnt vmcnt(18)                                        // 000000009200: BF8C4F72
	v_mfma_scale_f32_16x16x128_f8f6f4 v[160:163], a[32:35], v[72:75], v[160:163], v27, v44 op_sel_hi:[0,0,0] cbsz:4 blgp:4// 000000009204: D3AC6000 0002591B D3AD0CA0 8E829120
	buffer_load_dwordx4 a[96:99], v60, s[12:15], 0 offen offset:2048// 000000009214: E05C1800 8083603C
	v_mfma_scale_f32_16x16x128_f8f6f4 v[164:167], a[32:35], v[88:91], v[164:167], v27, v44 op_sel_hi:[0,0,0] cbsz:4 blgp:4// 00000000921C: D3AC7000 0002591B D3AD0CA4 8E92B120
	v_mfma_scale_f32_16x16x128_f8f6f4 v[168:171], a[36:39], v[72:75], v[168:171], v27, v44 op_sel_hi:[0,0,0] cbsz:4 blgp:4// 00000000922C: D3AC6800 0002591B D3AD0CA8 8EA29124
	buffer_load_dwordx4 a[100:103], v61, s[12:15], 0 offen offset:2048// 00000000923C: E05C1800 8083643D
	v_mfma_scale_f32_16x16x128_f8f6f4 v[172:175], a[36:39], v[88:91], v[172:175], v27, v44 op_sel_hi:[0,0,0] cbsz:4 blgp:4// 000000009244: D3AC7800 0002591B D3AD0CAC 8EB2B124
	s_waitcnt vmcnt(18)                                        // 000000009254: BF8C4F72
	v_mfma_scale_f32_16x16x128_f8f6f4 v[176:179], a[40:43], v[72:75], v[176:179], v28, v44 op_sel_hi:[0,0,0] cbsz:4 blgp:4// 000000009258: D3AC6000 0002591C D3AD0CB0 8EC29128
	buffer_load_dwordx4 a[104:107], v62, s[12:15], 0 offen offset:2048// 000000009268: E05C1800 8083683E
	v_mfma_scale_f32_16x16x128_f8f6f4 v[180:183], a[40:43], v[88:91], v[180:183], v28, v44 op_sel_hi:[0,0,0] cbsz:4 blgp:4// 000000009270: D3AC7000 0002591C D3AD0CB4 8ED2B128
	v_mfma_scale_f32_16x16x128_f8f6f4 v[184:187], a[44:47], v[72:75], v[184:187], v28, v44 op_sel_hi:[0,0,0] cbsz:4 blgp:4// 000000009280: D3AC6800 0002591C D3AD0CB8 8EE2912C
	buffer_load_dwordx4 a[108:111], v63, s[12:15], 0 offen offset:2048// 000000009290: E05C1800 80836C3F
	v_mfma_scale_f32_16x16x128_f8f6f4 v[188:191], a[44:47], v[88:91], v[188:191], v28, v44 op_sel_hi:[0,0,0] cbsz:4 blgp:4// 000000009298: D3AC7800 0002591C D3AD0CBC 8EF2B12C
	s_waitcnt vmcnt(18)                                        // 0000000092A8: BF8C4F72
	v_mfma_scale_f32_16x16x128_f8f6f4 v[160:163], a[48:51], v[76:79], v[160:163], v27, v44 op_sel_hi:[0,0,0] cbsz:4 blgp:4// 0000000092AC: D3AC6000 1802591B D3AD0CA0 8E829930
	buffer_load_dwordx4 a[112:115], v60, s[12:15], 0 offen offset:3072// 0000000092BC: E05C1C00 8083703C
	v_mfma_scale_f32_16x16x128_f8f6f4 v[164:167], a[48:51], v[92:95], v[164:167], v27, v44 op_sel_hi:[0,0,0] cbsz:4 blgp:4// 0000000092C4: D3AC7000 1802591B D3AD0CA4 8E92B930
	v_mfma_scale_f32_16x16x128_f8f6f4 v[168:171], a[52:55], v[76:79], v[168:171], v27, v44 op_sel_hi:[0,0,0] cbsz:4 blgp:4// 0000000092D4: D3AC6800 1802591B D3AD0CA8 8EA29934
	buffer_load_dwordx4 a[116:119], v61, s[12:15], 0 offen offset:3072// 0000000092E4: E05C1C00 8083743D
	v_mfma_scale_f32_16x16x128_f8f6f4 v[172:175], a[52:55], v[92:95], v[172:175], v27, v44 op_sel_hi:[0,0,0] cbsz:4 blgp:4// 0000000092EC: D3AC7800 1802591B D3AD0CAC 8EB2B934
	s_waitcnt vmcnt(18)                                        // 0000000092FC: BF8C4F72
	v_mfma_scale_f32_16x16x128_f8f6f4 v[176:179], a[56:59], v[76:79], v[176:179], v28, v44 op_sel_hi:[0,0,0] cbsz:4 blgp:4// 000000009300: D3AC6000 1802591C D3AD0CB0 8EC29938
	buffer_load_dwordx4 a[120:123], v62, s[12:15], 0 offen offset:3072// 000000009310: E05C1C00 8083783E
	v_mfma_scale_f32_16x16x128_f8f6f4 v[180:183], a[56:59], v[92:95], v[180:183], v28, v44 op_sel_hi:[0,0,0] cbsz:4 blgp:4// 000000009318: D3AC7000 1802591C D3AD0CB4 8ED2B938
	v_mfma_scale_f32_16x16x128_f8f6f4 v[184:187], a[60:63], v[76:79], v[184:187], v28, v44 op_sel_hi:[0,0,0] cbsz:4 blgp:4// 000000009328: D3AC6800 1802591C D3AD0CB8 8EE2993C
	buffer_load_dwordx4 a[124:127], v63, s[12:15], 0 offen offset:3072// 000000009338: E05C1C00 80837C3F
	v_mfma_scale_f32_16x16x128_f8f6f4 v[188:191], a[60:63], v[92:95], v[188:191], v28, v44 op_sel_hi:[0,0,0] cbsz:4 blgp:4// 000000009340: D3AC7800 1802591C D3AD0CBC 8EF2B93C
	s_add_u32 s60, 0x200, s80                                  // 000000009350: 803C50FF 00000200
	s_cmp_lt_u32 s60, s81                                      // 000000009358: BF0A513C
	s_cselect_b32 s56, s56, 0                                  // 00000000935C: 85388038
	s_cselect_b32 s78, s78, 0                                  // 000000009360: 854E804E
	s_cselect_b32 s79, s79, 0                                  // 000000009364: 854F804F
	s_add_u32 s12, s56, s12                                    // 000000009368: 800C0C38
	s_addc_u32 s13, 0, s13                                     // 00000000936C: 820D0D80
	s_add_u32 s16, s79, s16                                    // 000000009370: 8010104F
	s_addc_u32 s17, 0, s17                                     // 000000009374: 82111180
	v_mov_b32_e32 v2, v41                                      // 000000009378: 7E040329
	v_mov_b32_e32 v3, v41                                      // 00000000937C: 7E060329
	v_pk_mul_f32 v[160:161], v[2:3], v[160:161]                // 000000009380: D3B140A0 18034102
	v_pk_mul_f32 v[162:163], v[2:3], v[162:163]                // 000000009388: D3B140A2 18034502
	v_pk_mul_f32 v[168:169], v[2:3], v[168:169]                // 000000009390: D3B140A8 18035102
	v_pk_mul_f32 v[170:171], v[2:3], v[170:171]                // 000000009398: D3B140AA 18035502
	v_pk_mul_f32 v[176:177], v[2:3], v[176:177]                // 0000000093A0: D3B140B0 18036102
	v_pk_mul_f32 v[178:179], v[2:3], v[178:179]                // 0000000093A8: D3B140B2 18036502
	v_pk_mul_f32 v[184:185], v[2:3], v[184:185]                // 0000000093B0: D3B140B8 18037102
	v_pk_mul_f32 v[186:187], v[2:3], v[186:187]                // 0000000093B8: D3B140BA 18037502
	v_mov_b32_e32 v2, v42                                      // 0000000093C0: 7E04032A
	v_mov_b32_e32 v3, v42                                      // 0000000093C4: 7E06032A
	v_pk_mul_f32 v[164:165], v[2:3], v[164:165]                // 0000000093C8: D3B140A4 18034902
	v_pk_mul_f32 v[166:167], v[2:3], v[166:167]                // 0000000093D0: D3B140A6 18034D02
	v_pk_mul_f32 v[172:173], v[2:3], v[172:173]                // 0000000093D8: D3B140AC 18035902
	v_pk_mul_f32 v[174:175], v[2:3], v[174:175]                // 0000000093E0: D3B140AE 18035D02
	v_pk_mul_f32 v[180:181], v[2:3], v[180:181]                // 0000000093E8: D3B140B4 18036902
	v_pk_mul_f32 v[182:183], v[2:3], v[182:183]                // 0000000093F0: D3B140B6 18036D02
	v_pk_mul_f32 v[188:189], v[2:3], v[188:189]                // 0000000093F8: D3B140BC 18037902
	v_pk_mul_f32 v[190:191], v[2:3], v[190:191]                // 000000009400: D3B140BE 18037D02
	v_cvt_pk_bf16_f32 v160, v160, v161                         // 000000009408: D26800A0 000343A0
	v_cvt_pk_bf16_f32 v161, v162, v163                         // 000000009410: D26800A1 000347A2
	v_cvt_pk_bf16_f32 v162, v164, v165                         // 000000009418: D26800A2 00034BA4
	v_cvt_pk_bf16_f32 v163, v166, v167                         // 000000009420: D26800A3 00034FA6
	v_cvt_pk_bf16_f32 v164, v168, v169                         // 000000009428: D26800A4 000353A8
	v_cvt_pk_bf16_f32 v165, v170, v171                         // 000000009430: D26800A5 000357AA
	v_cvt_pk_bf16_f32 v166, v172, v173                         // 000000009438: D26800A6 00035BAC
	v_cvt_pk_bf16_f32 v167, v174, v175                         // 000000009440: D26800A7 00035FAE
	v_cvt_pk_bf16_f32 v168, v176, v177                         // 000000009448: D26800A8 000363B0
	v_cvt_pk_bf16_f32 v169, v178, v179                         // 000000009450: D26800A9 000367B2
	v_cvt_pk_bf16_f32 v170, v180, v181                         // 000000009458: D26800AA 00036BB4
	v_cvt_pk_bf16_f32 v171, v182, v183                         // 000000009460: D26800AB 00036FB6
	v_cvt_pk_bf16_f32 v172, v184, v185                         // 000000009468: D26800AC 000373B8
	v_cvt_pk_bf16_f32 v173, v186, v187                         // 000000009470: D26800AD 000377BA
	v_cvt_pk_bf16_f32 v174, v188, v189                         // 000000009478: D26800AE 00037BBC
	v_cvt_pk_bf16_f32 v175, v190, v191                         // 000000009480: D26800AF 00037FBE
	s_cmp_ge_u32 s80, 0x200                                    // 000000009488: BF09FF50 00000200
	s_cselect_b32 s59, 0x200, s59                              // 000000009490: 853B3BFF 00000200
	s_setvskip s20, 0                                          // 000000009498: BF108014
	global_atomic_pk_add_bf16 v144, v128, s[8:9]               // 00000000949C: DD488000 00088090
	s_setvskip 0, 0                                            // 0000000094A4: BF108080
	s_setvskip s20, 0                                          // 0000000094A8: BF108014
	global_atomic_pk_add_bf16 v144, v129, s[8:9] offset:256    // 0000000094AC: DD488100 00088190
	s_setvskip 0, 0                                            // 0000000094B4: BF108080
	s_setvskip s20, 1                                          // 0000000094B8: BF108114
	global_atomic_pk_add_bf16 v146, v130, s[8:9]               // 0000000094BC: DD488000 00088292
	s_setvskip 0, 0                                            // 0000000094C4: BF108080
	s_setvskip s20, 1                                          // 0000000094C8: BF108114
	global_atomic_pk_add_bf16 v146, v131, s[8:9] offset:256    // 0000000094CC: DD488100 00088392
	s_setvskip 0, 0                                            // 0000000094D4: BF108080
	s_setvskip s20, 2                                          // 0000000094D8: BF108214
	global_atomic_pk_add_bf16 v148, v132, s[8:9]               // 0000000094DC: DD488000 00088494
	s_setvskip 0, 0                                            // 0000000094E4: BF108080
	s_setvskip s20, 2                                          // 0000000094E8: BF108214
	global_atomic_pk_add_bf16 v148, v133, s[8:9] offset:256    // 0000000094EC: DD488100 00088594
	s_setvskip 0, 0                                            // 0000000094F4: BF108080
	s_setvskip s20, 3                                          // 0000000094F8: BF108314
	global_atomic_pk_add_bf16 v150, v134, s[8:9]               // 0000000094FC: DD488000 00088696
	s_setvskip 0, 0                                            // 000000009504: BF108080
	s_setvskip s20, 3                                          // 000000009508: BF108314
	global_atomic_pk_add_bf16 v150, v135, s[8:9] offset:256    // 00000000950C: DD488100 00088796
	s_setvskip 0, 0                                            // 000000009514: BF108080
	s_setvskip s20, 4                                          // 000000009518: BF108414
	global_atomic_pk_add_bf16 v152, v136, s[8:9]               // 00000000951C: DD488000 00088898
	s_setvskip 0, 0                                            // 000000009524: BF108080
	s_setvskip s20, 4                                          // 000000009528: BF108414
	global_atomic_pk_add_bf16 v152, v137, s[8:9] offset:256    // 00000000952C: DD488100 00088998
	s_setvskip 0, 0                                            // 000000009534: BF108080
	s_setvskip s20, 5                                          // 000000009538: BF108514
	global_atomic_pk_add_bf16 v154, v138, s[8:9]               // 00000000953C: DD488000 00088A9A
	s_setvskip 0, 0                                            // 000000009544: BF108080
	s_setvskip s20, 5                                          // 000000009548: BF108514
	global_atomic_pk_add_bf16 v154, v139, s[8:9] offset:256    // 00000000954C: DD488100 00088B9A
	s_setvskip 0, 0                                            // 000000009554: BF108080
	s_setvskip s20, 6                                          // 000000009558: BF108614
	global_atomic_pk_add_bf16 v156, v140, s[8:9]               // 00000000955C: DD488000 00088C9C
	s_setvskip 0, 0                                            // 000000009564: BF108080
	s_setvskip s20, 6                                          // 000000009568: BF108614
	global_atomic_pk_add_bf16 v156, v141, s[8:9] offset:256    // 00000000956C: DD488100 00088D9C
	s_setvskip 0, 0                                            // 000000009574: BF108080
	s_setvskip s20, 7                                          // 000000009578: BF108714
	global_atomic_pk_add_bf16 v158, v142, s[8:9]               // 00000000957C: DD488000 00088E9E
	s_setvskip 0, 0                                            // 000000009584: BF108080
	s_setvskip s20, 7                                          // 000000009588: BF108714
	global_atomic_pk_add_bf16 v158, v143, s[8:9] offset:256    // 00000000958C: DD488100 00088F9E
	s_setvskip 0, 0                                            // 000000009594: BF108080
	s_add_u32 s8, s59, s8                                      // 000000009598: 8008083B
	s_addc_u32 s9, 0, s9                                       // 00000000959C: 82090980
	s_addk_i32 s80, 0x100                                      // 0000000095A0: B7500100
	s_cmp_lt_i32 s80, s81                                      // 0000000095A4: BF045150
	s_cbranch_scc0 label_0EFB                                  // 0000000095A8: BF84F510
	s_waitcnt vmcnt(14) lgkmcnt(0)                             // 0000000095AC: BF8C007E
	s_barrier                                                  // 0000000095B0: BF8A0000
	v_mfma_scale_f32_16x16x128_f8f6f4 v[192:195], a[64:67], v[64:67], 0, v29, v43 op_sel_hi:[0,0,0] cbsz:4 blgp:4// 0000000095B4: D3AC6000 0002571D D3AD0CC0 8A028140
	buffer_load_dwordx4 a[0:3], v60, s[12:15], 0 offen         // 0000000095C4: E05C1000 8083003C
	v_mfma_scale_f32_16x16x128_f8f6f4 v[196:199], a[64:67], v[80:83], 0, v29, v43 op_sel_hi:[0,0,0] cbsz:4 blgp:4// 0000000095CC: D3AC7000 0002571D D3AD0CC4 8A02A140
	ds_read_b32 v128, v9 offset:17408                          // 0000000095DC: D86C4400 80000009
	ds_read_b32 v129, v9 offset:21760                          // 0000000095E4: D86C5500 81000009
	ds_read_b32 v130, v9 offset:17416                          // 0000000095EC: D86C4408 82000009
	ds_read_b32 v131, v9 offset:21768                          // 0000000095F4: D86C5508 83000009
	v_mfma_scale_f32_16x16x128_f8f6f4 v[200:203], a[68:71], v[64:67], 0, v29, v43 op_sel_hi:[0,0,0] cbsz:4 blgp:4// 0000000095FC: D3AC6800 0002571D D3AD0CC8 8A028144
	buffer_load_dwordx4 a[4:7], v61, s[12:15], 0 offen         // 00000000960C: E05C1000 8083043D
	buffer_load_dword v25, v10, s[16:19], 0 offen              // 000000009614: E0501000 8004190A
	buffer_load_dword v26, v11, s[16:19], 0 offen              // 00000000961C: E0501000 80041A0B
	buffer_load_dword v27, v10, s[16:19], 0 offen offset:256   // 000000009624: E0501100 80041B0A
	buffer_load_dword v28, v11, s[16:19], 0 offen offset:256   // 00000000962C: E0501100 80041C0B
	v_mfma_scale_f32_16x16x128_f8f6f4 v[204:207], a[68:71], v[80:83], 0, v29, v43 op_sel_hi:[0,0,0] cbsz:4 blgp:4// 000000009634: D3AC7800 0002571D D3AD0CCC 8A02A144
	ds_read_b32 v132, v9 offset:17440                          // 000000009644: D86C4420 84000009
	ds_read_b32 v133, v9 offset:21792                          // 00000000964C: D86C5520 85000009
	ds_read_b32 v134, v9 offset:17448                          // 000000009654: D86C4428 86000009
	ds_read_b32 v135, v9 offset:21800                          // 00000000965C: D86C5528 87000009
	s_waitcnt vmcnt(18)                                        // 000000009664: BF8C4F72
	v_mfma_scale_f32_16x16x128_f8f6f4 v[208:211], a[72:75], v[64:67], 0, v30, v43 op_sel_hi:[0,0,0] cbsz:4 blgp:4// 000000009668: D3AC6000 0002571E D3AD0CD0 8A028148
	buffer_load_dwordx4 a[8:11], v62, s[12:15], 0 offen        // 000000009678: E05C1000 8083083E
	v_mfma_scale_f32_16x16x128_f8f6f4 v[212:215], a[72:75], v[80:83], 0, v30, v43 op_sel_hi:[0,0,0] cbsz:4 blgp:4// 000000009680: D3AC7000 0002571E D3AD0CD4 8A02A148
	ds_read_b32 v136, v9 offset:26112                          // 000000009690: D86C6600 88000009
	ds_read_b32 v137, v9 offset:30464                          // 000000009698: D86C7700 89000009
	ds_read_b32 v138, v9 offset:26120                          // 0000000096A0: D86C6608 8A000009
	ds_read_b32 v139, v9 offset:30472                          // 0000000096A8: D86C7708 8B000009
	v_mfma_scale_f32_16x16x128_f8f6f4 v[216:219], a[76:79], v[64:67], 0, v30, v43 op_sel_hi:[0,0,0] cbsz:4 blgp:4// 0000000096B0: D3AC6800 0002571E D3AD0CD8 8A02814C
	buffer_load_dwordx4 a[12:15], v63, s[12:15], 0 offen       // 0000000096C0: E05C1000 80830C3F
	buffer_load_dword v27, v10, s[16:19], 0 offen offset:256   // 0000000096C8: E0501100 80041B0A
	buffer_load_dword v28, v11, s[16:19], 0 offen offset:256   // 0000000096D0: E0501100 80041C0B
	v_mfma_scale_f32_16x16x128_f8f6f4 v[220:223], a[76:79], v[80:83], 0, v30, v43 op_sel_hi:[0,0,0] cbsz:4 blgp:4// 0000000096D8: D3AC7800 0002571E D3AD0CDC 8A02A14C
	ds_read_b32 v140, v9 offset:26144                          // 0000000096E8: D86C6620 8C000009
	ds_read_b32 v141, v9 offset:30496                          // 0000000096F0: D86C7720 8D000009
	ds_read_b32 v142, v9 offset:26152                          // 0000000096F8: D86C6628 8E000009
	ds_read_b32 v143, v9 offset:30504                          // 000000009700: D86C7728 8F000009
	s_waitcnt vmcnt(18)                                        // 000000009708: BF8C4F72
	v_mfma_scale_f32_16x16x128_f8f6f4 v[192:195], a[80:83], v[68:71], v[192:195], v29, v43 op_sel_hi:[0,0,0] cbsz:4 blgp:4// 00000000970C: D3AC6000 1802571D D3AD0CC0 8F028950
	buffer_load_dwordx4 a[16:19], v60, s[12:15], 0 offen offset:1024// 00000000971C: E05C1400 8083103C
	v_mfma_scale_f32_16x16x128_f8f6f4 v[196:199], a[80:83], v[84:87], v[196:199], v29, v43 op_sel_hi:[0,0,0] cbsz:4 blgp:4// 000000009724: D3AC7000 1802571D D3AD0CC4 8F12A950
	ds_write_b64 v8, v[160:161]                                // 000000009734: D89A0000 0000A008
	ds_write_b64 v8, v[162:163] offset:8704                    // 00000000973C: D89A2200 0000A208
	v_mfma_scale_f32_16x16x128_f8f6f4 v[200:203], a[84:87], v[68:71], v[200:203], v29, v43 op_sel_hi:[0,0,0] cbsz:4 blgp:4// 000000009744: D3AC6800 1802571D D3AD0CC8 8F228954
	buffer_load_dwordx4 a[20:23], v61, s[12:15], 0 offen offset:1024// 000000009754: E05C1400 8083143D
	v_mfma_scale_f32_16x16x128_f8f6f4 v[204:207], a[84:87], v[84:87], v[204:207], v29, v43 op_sel_hi:[0,0,0] cbsz:4 blgp:4// 00000000975C: D3AC7800 1802571D D3AD0CCC 8F32A954
	ds_write_b64 v8, v[164:165] offset:544                     // 00000000976C: D89A0220 0000A408
	ds_write_b64 v8, v[166:167] offset:9248                    // 000000009774: D89A2420 0000A608
	s_waitcnt vmcnt(18)                                        // 00000000977C: BF8C4F72
	v_mfma_scale_f32_16x16x128_f8f6f4 v[208:211], a[88:91], v[68:71], v[208:211], v30, v43 op_sel_hi:[0,0,0] cbsz:4 blgp:4// 000000009780: D3AC6000 1802571E D3AD0CD0 8F428958
	buffer_load_dwordx4 a[24:27], v62, s[12:15], 0 offen offset:1024// 000000009790: E05C1400 8083183E
	v_mfma_scale_f32_16x16x128_f8f6f4 v[212:215], a[88:91], v[84:87], v[212:215], v30, v43 op_sel_hi:[0,0,0] cbsz:4 blgp:4// 000000009798: D3AC7000 1802571E D3AD0CD4 8F52A958
	ds_write_b64 v8, v[168:169] offset:4352                    // 0000000097A8: D89A1100 0000A808
	ds_write_b64 v8, v[170:171] offset:13056                   // 0000000097B0: D89A3300 0000AA08
	v_mfma_scale_f32_16x16x128_f8f6f4 v[216:219], a[92:95], v[68:71], v[216:219], v30, v43 op_sel_hi:[0,0,0] cbsz:4 blgp:4// 0000000097B8: D3AC6800 1802571E D3AD0CD8 8F62895C
	buffer_load_dwordx4 a[28:31], v63, s[12:15], 0 offen offset:1024// 0000000097C8: E05C1400 80831C3F
	v_mfma_scale_f32_16x16x128_f8f6f4 v[220:223], a[92:95], v[84:87], v[220:223], v30, v43 op_sel_hi:[0,0,0] cbsz:4 blgp:4// 0000000097D0: D3AC7800 1802571E D3AD0CDC 8F72A95C
	ds_write_b64 v8, v[172:173] offset:4896                    // 0000000097E0: D89A1320 0000AC08
	ds_write_b64 v8, v[174:175] offset:13600                   // 0000000097E8: D89A3520 0000AE08
	s_waitcnt vmcnt(18)                                        // 0000000097F0: BF8C4F72
	v_mfma_scale_f32_16x16x128_f8f6f4 v[192:195], a[96:99], v[72:75], v[192:195], v31, v44 op_sel_hi:[0,0,0] cbsz:4 blgp:4// 0000000097F4: D3AC6000 0002591F D3AD0CC0 8F029160
	buffer_load_dwordx4 a[32:35], v60, s[12:15], 0 offen offset:2048// 000000009804: E05C1800 8083203C
	v_mfma_scale_f32_16x16x128_f8f6f4 v[196:199], a[96:99], v[88:91], v[196:199], v31, v44 op_sel_hi:[0,0,0] cbsz:4 blgp:4// 00000000980C: D3AC7000 0002591F D3AD0CC4 8F12B160
	v_mfma_scale_f32_16x16x128_f8f6f4 v[200:203], a[100:103], v[72:75], v[200:203], v31, v44 op_sel_hi:[0,0,0] cbsz:4 blgp:4// 00000000981C: D3AC6800 0002591F D3AD0CC8 8F229164
	buffer_load_dwordx4 a[36:39], v61, s[12:15], 0 offen offset:2048// 00000000982C: E05C1800 8083243D
	v_mfma_scale_f32_16x16x128_f8f6f4 v[204:207], a[100:103], v[88:91], v[204:207], v31, v44 op_sel_hi:[0,0,0] cbsz:4 blgp:4// 000000009834: D3AC7800 0002591F D3AD0CCC 8F32B164
	s_waitcnt vmcnt(18)                                        // 000000009844: BF8C4F72
	v_mfma_scale_f32_16x16x128_f8f6f4 v[208:211], a[104:107], v[72:75], v[208:211], v32, v44 op_sel_hi:[0,0,0] cbsz:4 blgp:4// 000000009848: D3AC6000 00025920 D3AD0CD0 8F429168
	buffer_load_dwordx4 a[40:43], v62, s[12:15], 0 offen offset:2048// 000000009858: E05C1800 8083283E
	v_mfma_scale_f32_16x16x128_f8f6f4 v[212:215], a[104:107], v[88:91], v[212:215], v32, v44 op_sel_hi:[0,0,0] cbsz:4 blgp:4// 000000009860: D3AC7000 00025920 D3AD0CD4 8F52B168
	v_mfma_scale_f32_16x16x128_f8f6f4 v[216:219], a[108:111], v[72:75], v[216:219], v32, v44 op_sel_hi:[0,0,0] cbsz:4 blgp:4// 000000009870: D3AC6800 00025920 D3AD0CD8 8F62916C
	buffer_load_dwordx4 a[44:47], v63, s[12:15], 0 offen offset:2048// 000000009880: E05C1800 80832C3F
	v_mfma_scale_f32_16x16x128_f8f6f4 v[220:223], a[108:111], v[88:91], v[220:223], v32, v44 op_sel_hi:[0,0,0] cbsz:4 blgp:4// 000000009888: D3AC7800 00025920 D3AD0CDC 8F72B16C
	s_waitcnt vmcnt(18)                                        // 000000009898: BF8C4F72
	v_mfma_scale_f32_16x16x128_f8f6f4 v[192:195], a[112:115], v[76:79], v[192:195], v31, v44 op_sel_hi:[0,0,0] cbsz:4 blgp:4// 00000000989C: D3AC6000 1802591F D3AD0CC0 8F029970
	buffer_load_dwordx4 a[48:51], v60, s[12:15], 0 offen offset:3072// 0000000098AC: E05C1C00 8083303C
	v_mfma_scale_f32_16x16x128_f8f6f4 v[196:199], a[112:115], v[92:95], v[196:199], v31, v44 op_sel_hi:[0,0,0] cbsz:4 blgp:4// 0000000098B4: D3AC7000 1802591F D3AD0CC4 8F12B970
	v_mfma_scale_f32_16x16x128_f8f6f4 v[200:203], a[116:119], v[76:79], v[200:203], v31, v44 op_sel_hi:[0,0,0] cbsz:4 blgp:4// 0000000098C4: D3AC6800 1802591F D3AD0CC8 8F229974
	buffer_load_dwordx4 a[52:55], v61, s[12:15], 0 offen offset:3072// 0000000098D4: E05C1C00 8083343D
	v_mfma_scale_f32_16x16x128_f8f6f4 v[204:207], a[116:119], v[92:95], v[204:207], v31, v44 op_sel_hi:[0,0,0] cbsz:4 blgp:4// 0000000098DC: D3AC7800 1802591F D3AD0CCC 8F32B974
	s_waitcnt vmcnt(18)                                        // 0000000098EC: BF8C4F72
	v_mfma_scale_f32_16x16x128_f8f6f4 v[208:211], a[120:123], v[76:79], v[208:211], v32, v44 op_sel_hi:[0,0,0] cbsz:4 blgp:4// 0000000098F0: D3AC6000 18025920 D3AD0CD0 8F429978
	buffer_load_dwordx4 a[56:59], v62, s[12:15], 0 offen offset:3072// 000000009900: E05C1C00 8083383E
	v_mfma_scale_f32_16x16x128_f8f6f4 v[212:215], a[120:123], v[92:95], v[212:215], v32, v44 op_sel_hi:[0,0,0] cbsz:4 blgp:4// 000000009908: D3AC7000 18025920 D3AD0CD4 8F52B978
	v_mfma_scale_f32_16x16x128_f8f6f4 v[216:219], a[124:127], v[76:79], v[216:219], v32, v44 op_sel_hi:[0,0,0] cbsz:4 blgp:4// 000000009918: D3AC6800 18025920 D3AD0CD8 8F62997C
	buffer_load_dwordx4 a[60:63], v63, s[12:15], 0 offen offset:3072// 000000009928: E05C1C00 80833C3F
	v_mfma_scale_f32_16x16x128_f8f6f4 v[220:223], a[124:127], v[92:95], v[220:223], v32, v44 op_sel_hi:[0,0,0] cbsz:4 blgp:4// 000000009930: D3AC7800 18025920 D3AD0CDC 8F72B97C
	s_add_u32 s60, 0x200, s80                                  // 000000009940: 803C50FF 00000200
	s_cmp_lt_u32 s60, s81                                      // 000000009948: BF0A513C
	s_cselect_b32 s56, s56, 0                                  // 00000000994C: 85388038
	s_cselect_b32 s78, s78, 0                                  // 000000009950: 854E804E
	s_cselect_b32 s79, s79, 0                                  // 000000009954: 854F804F
	s_add_u32 s12, s56, s12                                    // 000000009958: 800C0C38
	s_addc_u32 s13, 0, s13                                     // 00000000995C: 820D0D80
	s_add_u32 s16, s79, s16                                    // 000000009960: 8010104F
	s_addc_u32 s17, 0, s17                                     // 000000009964: 82111180
	v_mov_b32_e32 v2, v41                                      // 000000009968: 7E040329
	v_mov_b32_e32 v3, v41                                      // 00000000996C: 7E060329
	v_pk_mul_f32 v[192:193], v[2:3], v[192:193]                // 000000009970: D3B140C0 18038102
	v_pk_mul_f32 v[194:195], v[2:3], v[194:195]                // 000000009978: D3B140C2 18038502
	v_pk_mul_f32 v[200:201], v[2:3], v[200:201]                // 000000009980: D3B140C8 18039102
	v_pk_mul_f32 v[202:203], v[2:3], v[202:203]                // 000000009988: D3B140CA 18039502
	v_pk_mul_f32 v[208:209], v[2:3], v[208:209]                // 000000009990: D3B140D0 1803A102
	v_pk_mul_f32 v[210:211], v[2:3], v[210:211]                // 000000009998: D3B140D2 1803A502
	v_pk_mul_f32 v[216:217], v[2:3], v[216:217]                // 0000000099A0: D3B140D8 1803B102
	v_pk_mul_f32 v[218:219], v[2:3], v[218:219]                // 0000000099A8: D3B140DA 1803B502
	v_mov_b32_e32 v2, v42                                      // 0000000099B0: 7E04032A
	v_mov_b32_e32 v3, v42                                      // 0000000099B4: 7E06032A
	v_pk_mul_f32 v[196:197], v[2:3], v[196:197]                // 0000000099B8: D3B140C4 18038902
	v_pk_mul_f32 v[198:199], v[2:3], v[198:199]                // 0000000099C0: D3B140C6 18038D02
	v_pk_mul_f32 v[204:205], v[2:3], v[204:205]                // 0000000099C8: D3B140CC 18039902
	v_pk_mul_f32 v[206:207], v[2:3], v[206:207]                // 0000000099D0: D3B140CE 18039D02
	v_pk_mul_f32 v[212:213], v[2:3], v[212:213]                // 0000000099D8: D3B140D4 1803A902
	v_pk_mul_f32 v[214:215], v[2:3], v[214:215]                // 0000000099E0: D3B140D6 1803AD02
	v_pk_mul_f32 v[220:221], v[2:3], v[220:221]                // 0000000099E8: D3B140DC 1803B902
	v_pk_mul_f32 v[222:223], v[2:3], v[222:223]                // 0000000099F0: D3B140DE 1803BD02
	v_cvt_pk_bf16_f32 v192, v192, v193                         // 0000000099F8: D26800C0 000383C0
	v_cvt_pk_bf16_f32 v193, v194, v195                         // 000000009A00: D26800C1 000387C2
	v_cvt_pk_bf16_f32 v194, v196, v197                         // 000000009A08: D26800C2 00038BC4
	v_cvt_pk_bf16_f32 v195, v198, v199                         // 000000009A10: D26800C3 00038FC6
	v_cvt_pk_bf16_f32 v196, v200, v201                         // 000000009A18: D26800C4 000393C8
	v_cvt_pk_bf16_f32 v197, v202, v203                         // 000000009A20: D26800C5 000397CA
	v_cvt_pk_bf16_f32 v198, v204, v205                         // 000000009A28: D26800C6 00039BCC
	v_cvt_pk_bf16_f32 v199, v206, v207                         // 000000009A30: D26800C7 00039FCE
	v_cvt_pk_bf16_f32 v200, v208, v209                         // 000000009A38: D26800C8 0003A3D0
	v_cvt_pk_bf16_f32 v201, v210, v211                         // 000000009A40: D26800C9 0003A7D2
	v_cvt_pk_bf16_f32 v202, v212, v213                         // 000000009A48: D26800CA 0003ABD4
	v_cvt_pk_bf16_f32 v203, v214, v215                         // 000000009A50: D26800CB 0003AFD6
	v_cvt_pk_bf16_f32 v204, v216, v217                         // 000000009A58: D26800CC 0003B3D8
	v_cvt_pk_bf16_f32 v205, v218, v219                         // 000000009A60: D26800CD 0003B7DA
	v_cvt_pk_bf16_f32 v206, v220, v221                         // 000000009A68: D26800CE 0003BBDC
	v_cvt_pk_bf16_f32 v207, v222, v223                         // 000000009A70: D26800CF 0003BFDE
	s_cmp_ge_u32 s80, 0x200                                    // 000000009A78: BF09FF50 00000200
	s_cselect_b32 s59, 0x200, s59                              // 000000009A80: 853B3BFF 00000200
	s_setvskip s20, 0                                          // 000000009A88: BF108014
	global_atomic_pk_add_bf16 v144, v128, s[8:9]               // 000000009A8C: DD488000 00088090
	s_setvskip 0, 0                                            // 000000009A94: BF108080
	s_setvskip s20, 0                                          // 000000009A98: BF108014
	global_atomic_pk_add_bf16 v144, v129, s[8:9] offset:256    // 000000009A9C: DD488100 00088190
	s_setvskip 0, 0                                            // 000000009AA4: BF108080
	s_setvskip s20, 1                                          // 000000009AA8: BF108114
	global_atomic_pk_add_bf16 v146, v130, s[8:9]               // 000000009AAC: DD488000 00088292
	s_setvskip 0, 0                                            // 000000009AB4: BF108080
	s_setvskip s20, 1                                          // 000000009AB8: BF108114
	global_atomic_pk_add_bf16 v146, v131, s[8:9] offset:256    // 000000009ABC: DD488100 00088392
	s_setvskip 0, 0                                            // 000000009AC4: BF108080
	s_setvskip s20, 2                                          // 000000009AC8: BF108214
	global_atomic_pk_add_bf16 v148, v132, s[8:9]               // 000000009ACC: DD488000 00088494
	s_setvskip 0, 0                                            // 000000009AD4: BF108080
	s_setvskip s20, 2                                          // 000000009AD8: BF108214
	global_atomic_pk_add_bf16 v148, v133, s[8:9] offset:256    // 000000009ADC: DD488100 00088594
	s_setvskip 0, 0                                            // 000000009AE4: BF108080
	s_setvskip s20, 3                                          // 000000009AE8: BF108314
	global_atomic_pk_add_bf16 v150, v134, s[8:9]               // 000000009AEC: DD488000 00088696
	s_setvskip 0, 0                                            // 000000009AF4: BF108080
	s_setvskip s20, 3                                          // 000000009AF8: BF108314
	global_atomic_pk_add_bf16 v150, v135, s[8:9] offset:256    // 000000009AFC: DD488100 00088796
	s_setvskip 0, 0                                            // 000000009B04: BF108080
	s_setvskip s20, 4                                          // 000000009B08: BF108414
	global_atomic_pk_add_bf16 v152, v136, s[8:9]               // 000000009B0C: DD488000 00088898
	s_setvskip 0, 0                                            // 000000009B14: BF108080
	s_setvskip s20, 4                                          // 000000009B18: BF108414
	global_atomic_pk_add_bf16 v152, v137, s[8:9] offset:256    // 000000009B1C: DD488100 00088998
	s_setvskip 0, 0                                            // 000000009B24: BF108080
	s_setvskip s20, 5                                          // 000000009B28: BF108514
	global_atomic_pk_add_bf16 v154, v138, s[8:9]               // 000000009B2C: DD488000 00088A9A
	s_setvskip 0, 0                                            // 000000009B34: BF108080
	s_setvskip s20, 5                                          // 000000009B38: BF108514
	global_atomic_pk_add_bf16 v154, v139, s[8:9] offset:256    // 000000009B3C: DD488100 00088B9A
	s_setvskip 0, 0                                            // 000000009B44: BF108080
	s_setvskip s20, 6                                          // 000000009B48: BF108614
	global_atomic_pk_add_bf16 v156, v140, s[8:9]               // 000000009B4C: DD488000 00088C9C
	s_setvskip 0, 0                                            // 000000009B54: BF108080
	s_setvskip s20, 6                                          // 000000009B58: BF108614
	global_atomic_pk_add_bf16 v156, v141, s[8:9] offset:256    // 000000009B5C: DD488100 00088D9C
	s_setvskip 0, 0                                            // 000000009B64: BF108080
	s_setvskip s20, 7                                          // 000000009B68: BF108714
	global_atomic_pk_add_bf16 v158, v142, s[8:9]               // 000000009B6C: DD488000 00088E9E
	s_setvskip 0, 0                                            // 000000009B74: BF108080
	s_setvskip s20, 7                                          // 000000009B78: BF108714
	global_atomic_pk_add_bf16 v158, v143, s[8:9] offset:256    // 000000009B7C: DD488100 00088F9E
	s_setvskip 0, 0                                            // 000000009B84: BF108080
	s_add_u32 s8, s59, s8                                      // 000000009B88: 8008083B
	s_addc_u32 s9, 0, s9                                       // 000000009B8C: 82090980
	s_addk_i32 s80, 0x100                                      // 000000009B90: B7500100
	s_cmp_lt_i32 s80, s81                                      // 000000009B94: BF045150
	s_cbranch_scc0 label_0EFB                                  // 000000009B98: BF84F394
	s_branch label_186F                                        // 000000009B9C: BF82FD07

0000000000009ba0 <label_1B68>:
	s_cmp_ge_u32 s59, 0                                        // 000000009BA0: BF09803B
	s_cselect_b32 s59, 0x200, s59                              // 000000009BA4: 853B3BFF 00000200
	s_waitcnt lgkmcnt(0)                                       // 000000009BAC: BF8CC07F
	s_barrier                                                  // 000000009BB0: BF8A0000
	s_cmp_eq_u32 s64, 0x100                                    // 000000009BB4: BF06FF40 00000100
	s_cbranch_scc0 label_1BE4                                  // 000000009BBC: BF840074
	ds_write_b64 v8, v[160:161]                                // 000000009BC0: D89A0000 0000A008
	ds_write_b64 v8, v[162:163] offset:8704                    // 000000009BC8: D89A2200 0000A208
	ds_write_b64 v8, v[164:165] offset:544                     // 000000009BD0: D89A0220 0000A408
	ds_write_b64 v8, v[166:167] offset:9248                    // 000000009BD8: D89A2420 0000A608
	ds_write_b64 v8, v[168:169] offset:4352                    // 000000009BE0: D89A1100 0000A808
	ds_write_b64 v8, v[170:171] offset:13056                   // 000000009BE8: D89A3300 0000AA08
	ds_write_b64 v8, v[172:173] offset:4896                    // 000000009BF0: D89A1320 0000AC08
	ds_write_b64 v8, v[174:175] offset:13600                   // 000000009BF8: D89A3520 0000AE08
	s_waitcnt lgkmcnt(0)                                       // 000000009C00: BF8CC07F
	s_barrier                                                  // 000000009C04: BF8A0000
	ds_read_b32 v128, v9                                       // 000000009C08: D86C0000 80000009
	ds_read_b32 v129, v9 offset:4352                           // 000000009C10: D86C1100 81000009
	ds_read_b32 v130, v9 offset:8                              // 000000009C18: D86C0008 82000009
	ds_read_b32 v131, v9 offset:4360                           // 000000009C20: D86C1108 83000009
	ds_read_b32 v132, v9 offset:32                             // 000000009C28: D86C0020 84000009
	ds_read_b32 v133, v9 offset:4384                           // 000000009C30: D86C1120 85000009
	ds_read_b32 v134, v9 offset:40                             // 000000009C38: D86C0028 86000009
	ds_read_b32 v135, v9 offset:4392                           // 000000009C40: D86C1128 87000009
	ds_read_b32 v136, v9 offset:8704                           // 000000009C48: D86C2200 88000009
	ds_read_b32 v137, v9 offset:13056                          // 000000009C50: D86C3300 89000009
	ds_read_b32 v138, v9 offset:8712                           // 000000009C58: D86C2208 8A000009
	ds_read_b32 v139, v9 offset:13064                          // 000000009C60: D86C3308 8B000009
	ds_read_b32 v140, v9 offset:8736                           // 000000009C68: D86C2220 8C000009
	ds_read_b32 v141, v9 offset:13088                          // 000000009C70: D86C3320 8D000009
	ds_read_b32 v142, v9 offset:8744                           // 000000009C78: D86C2228 8E000009
	ds_read_b32 v143, v9 offset:13096                          // 000000009C80: D86C3328 8F000009
	s_waitcnt lgkmcnt(0)                                       // 000000009C88: BF8CC07F
	s_setvskip s20, 0                                          // 000000009C8C: BF108014
	global_atomic_pk_add_bf16 v144, v128, s[8:9]               // 000000009C90: DD488000 00088090
	s_setvskip 0, 0                                            // 000000009C98: BF108080
	s_setvskip s20, 0                                          // 000000009C9C: BF108014
	global_atomic_pk_add_bf16 v144, v129, s[8:9] offset:256    // 000000009CA0: DD488100 00088190
	s_setvskip 0, 0                                            // 000000009CA8: BF108080
	s_setvskip s20, 1                                          // 000000009CAC: BF108114
	global_atomic_pk_add_bf16 v146, v130, s[8:9]               // 000000009CB0: DD488000 00088292
	s_setvskip 0, 0                                            // 000000009CB8: BF108080
	s_setvskip s20, 1                                          // 000000009CBC: BF108114
	global_atomic_pk_add_bf16 v146, v131, s[8:9] offset:256    // 000000009CC0: DD488100 00088392
	s_setvskip 0, 0                                            // 000000009CC8: BF108080
	s_setvskip s20, 2                                          // 000000009CCC: BF108214
	global_atomic_pk_add_bf16 v148, v132, s[8:9]               // 000000009CD0: DD488000 00088494
	s_setvskip 0, 0                                            // 000000009CD8: BF108080
	s_setvskip s20, 2                                          // 000000009CDC: BF108214
	global_atomic_pk_add_bf16 v148, v133, s[8:9] offset:256    // 000000009CE0: DD488100 00088594
	s_setvskip 0, 0                                            // 000000009CE8: BF108080
	s_setvskip s20, 3                                          // 000000009CEC: BF108314
	global_atomic_pk_add_bf16 v150, v134, s[8:9]               // 000000009CF0: DD488000 00088696
	s_setvskip 0, 0                                            // 000000009CF8: BF108080
	s_setvskip s20, 3                                          // 000000009CFC: BF108314
	global_atomic_pk_add_bf16 v150, v135, s[8:9] offset:256    // 000000009D00: DD488100 00088796
	s_setvskip 0, 0                                            // 000000009D08: BF108080
	s_setvskip s20, 4                                          // 000000009D0C: BF108414
	global_atomic_pk_add_bf16 v152, v136, s[8:9]               // 000000009D10: DD488000 00088898
	s_setvskip 0, 0                                            // 000000009D18: BF108080
	s_setvskip s20, 4                                          // 000000009D1C: BF108414
	global_atomic_pk_add_bf16 v152, v137, s[8:9] offset:256    // 000000009D20: DD488100 00088998
	s_setvskip 0, 0                                            // 000000009D28: BF108080
	s_setvskip s20, 5                                          // 000000009D2C: BF108514
	global_atomic_pk_add_bf16 v154, v138, s[8:9]               // 000000009D30: DD488000 00088A9A
	s_setvskip 0, 0                                            // 000000009D38: BF108080
	s_setvskip s20, 5                                          // 000000009D3C: BF108514
	global_atomic_pk_add_bf16 v154, v139, s[8:9] offset:256    // 000000009D40: DD488100 00088B9A
	s_setvskip 0, 0                                            // 000000009D48: BF108080
	s_setvskip s20, 6                                          // 000000009D4C: BF108614
	global_atomic_pk_add_bf16 v156, v140, s[8:9]               // 000000009D50: DD488000 00088C9C
	s_setvskip 0, 0                                            // 000000009D58: BF108080
	s_setvskip s20, 6                                          // 000000009D5C: BF108614
	global_atomic_pk_add_bf16 v156, v141, s[8:9] offset:256    // 000000009D60: DD488100 00088D9C
	s_setvskip 0, 0                                            // 000000009D68: BF108080
	s_setvskip s20, 7                                          // 000000009D6C: BF108714
	global_atomic_pk_add_bf16 v158, v142, s[8:9]               // 000000009D70: DD488000 00088E9E
	s_setvskip 0, 0                                            // 000000009D78: BF108080
	s_setvskip s20, 7                                          // 000000009D7C: BF108714
	global_atomic_pk_add_bf16 v158, v143, s[8:9] offset:256    // 000000009D80: DD488100 00088F9E
	s_setvskip 0, 0                                            // 000000009D88: BF108080
	s_branch label_1CBA                                        // 000000009D8C: BF8200D6

0000000000009d90 <label_1BE4>:
	ds_read_b32 v128, v9                                       // 000000009D90: D86C0000 80000009
	ds_read_b32 v129, v9 offset:4352                           // 000000009D98: D86C1100 81000009
	ds_read_b32 v130, v9 offset:8                              // 000000009DA0: D86C0008 82000009
	ds_read_b32 v131, v9 offset:4360                           // 000000009DA8: D86C1108 83000009
	ds_read_b32 v132, v9 offset:32                             // 000000009DB0: D86C0020 84000009
	ds_read_b32 v133, v9 offset:4384                           // 000000009DB8: D86C1120 85000009
	ds_read_b32 v134, v9 offset:40                             // 000000009DC0: D86C0028 86000009
	ds_read_b32 v135, v9 offset:4392                           // 000000009DC8: D86C1128 87000009
	ds_read_b32 v136, v9 offset:8704                           // 000000009DD0: D86C2200 88000009
	ds_read_b32 v137, v9 offset:13056                          // 000000009DD8: D86C3300 89000009
	ds_read_b32 v138, v9 offset:8712                           // 000000009DE0: D86C2208 8A000009
	ds_read_b32 v139, v9 offset:13064                          // 000000009DE8: D86C3308 8B000009
	ds_read_b32 v140, v9 offset:8736                           // 000000009DF0: D86C2220 8C000009
	ds_read_b32 v141, v9 offset:13088                          // 000000009DF8: D86C3320 8D000009
	ds_read_b32 v142, v9 offset:8744                           // 000000009E00: D86C2228 8E000009
	ds_read_b32 v143, v9 offset:13096                          // 000000009E08: D86C3328 8F000009
	s_waitcnt lgkmcnt(0)                                       // 000000009E10: BF8CC07F
	s_setvskip s20, 0                                          // 000000009E14: BF108014
	global_atomic_pk_add_bf16 v144, v128, s[8:9]               // 000000009E18: DD488000 00088090
	s_setvskip 0, 0                                            // 000000009E20: BF108080
	s_setvskip s20, 0                                          // 000000009E24: BF108014
	global_atomic_pk_add_bf16 v144, v129, s[8:9] offset:256    // 000000009E28: DD488100 00088190
	s_setvskip 0, 0                                            // 000000009E30: BF108080
	s_setvskip s20, 1                                          // 000000009E34: BF108114
	global_atomic_pk_add_bf16 v146, v130, s[8:9]               // 000000009E38: DD488000 00088292
	s_setvskip 0, 0                                            // 000000009E40: BF108080
	s_setvskip s20, 1                                          // 000000009E44: BF108114
	global_atomic_pk_add_bf16 v146, v131, s[8:9] offset:256    // 000000009E48: DD488100 00088392
	s_setvskip 0, 0                                            // 000000009E50: BF108080
	s_setvskip s20, 2                                          // 000000009E54: BF108214
	global_atomic_pk_add_bf16 v148, v132, s[8:9]               // 000000009E58: DD488000 00088494
	s_setvskip 0, 0                                            // 000000009E60: BF108080
	s_setvskip s20, 2                                          // 000000009E64: BF108214
	global_atomic_pk_add_bf16 v148, v133, s[8:9] offset:256    // 000000009E68: DD488100 00088594
	s_setvskip 0, 0                                            // 000000009E70: BF108080
	s_setvskip s20, 3                                          // 000000009E74: BF108314
	global_atomic_pk_add_bf16 v150, v134, s[8:9]               // 000000009E78: DD488000 00088696
	s_setvskip 0, 0                                            // 000000009E80: BF108080
	s_setvskip s20, 3                                          // 000000009E84: BF108314
	global_atomic_pk_add_bf16 v150, v135, s[8:9] offset:256    // 000000009E88: DD488100 00088796
	s_setvskip 0, 0                                            // 000000009E90: BF108080
	s_setvskip s20, 4                                          // 000000009E94: BF108414
	global_atomic_pk_add_bf16 v152, v136, s[8:9]               // 000000009E98: DD488000 00088898
	s_setvskip 0, 0                                            // 000000009EA0: BF108080
	s_setvskip s20, 4                                          // 000000009EA4: BF108414
	global_atomic_pk_add_bf16 v152, v137, s[8:9] offset:256    // 000000009EA8: DD488100 00088998
	s_setvskip 0, 0                                            // 000000009EB0: BF108080
	s_setvskip s20, 5                                          // 000000009EB4: BF108514
	global_atomic_pk_add_bf16 v154, v138, s[8:9]               // 000000009EB8: DD488000 00088A9A
	s_setvskip 0, 0                                            // 000000009EC0: BF108080
	s_setvskip s20, 5                                          // 000000009EC4: BF108514
	global_atomic_pk_add_bf16 v154, v139, s[8:9] offset:256    // 000000009EC8: DD488100 00088B9A
	s_setvskip 0, 0                                            // 000000009ED0: BF108080
	s_setvskip s20, 6                                          // 000000009ED4: BF108614
	global_atomic_pk_add_bf16 v156, v140, s[8:9]               // 000000009ED8: DD488000 00088C9C
	s_setvskip 0, 0                                            // 000000009EE0: BF108080
	s_setvskip s20, 6                                          // 000000009EE4: BF108614
	global_atomic_pk_add_bf16 v156, v141, s[8:9] offset:256    // 000000009EE8: DD488100 00088D9C
	s_setvskip 0, 0                                            // 000000009EF0: BF108080
	s_setvskip s20, 7                                          // 000000009EF4: BF108714
	global_atomic_pk_add_bf16 v158, v142, s[8:9]               // 000000009EF8: DD488000 00088E9E
	s_setvskip 0, 0                                            // 000000009F00: BF108080
	s_setvskip s20, 7                                          // 000000009F04: BF108714
	global_atomic_pk_add_bf16 v158, v143, s[8:9] offset:256    // 000000009F08: DD488100 00088F9E
	s_setvskip 0, 0                                            // 000000009F10: BF108080
	s_add_u32 s8, s59, s8                                      // 000000009F14: 8008083B
	s_addc_u32 s9, 0, s9                                       // 000000009F18: 82090980
	ds_write_b64 v8, v[192:193] offset:17408                   // 000000009F1C: D89A4400 0000C008
	ds_write_b64 v8, v[194:195] offset:26112                   // 000000009F24: D89A6600 0000C208
	ds_write_b64 v8, v[196:197] offset:17952                   // 000000009F2C: D89A4620 0000C408
	ds_write_b64 v8, v[198:199] offset:26656                   // 000000009F34: D89A6820 0000C608
	ds_write_b64 v8, v[200:201] offset:21760                   // 000000009F3C: D89A5500 0000C808
	ds_write_b64 v8, v[202:203] offset:30464                   // 000000009F44: D89A7700 0000CA08
	ds_write_b64 v8, v[204:205] offset:22304                   // 000000009F4C: D89A5720 0000CC08
	ds_write_b64 v8, v[206:207] offset:31008                   // 000000009F54: D89A7920 0000CE08
	s_waitcnt lgkmcnt(0)                                       // 000000009F5C: BF8CC07F
	s_barrier                                                  // 000000009F60: BF8A0000
	ds_read_b32 v128, v9 offset:17408                          // 000000009F64: D86C4400 80000009
	ds_read_b32 v129, v9 offset:21760                          // 000000009F6C: D86C5500 81000009
	ds_read_b32 v130, v9 offset:17416                          // 000000009F74: D86C4408 82000009
	ds_read_b32 v131, v9 offset:21768                          // 000000009F7C: D86C5508 83000009
	ds_read_b32 v132, v9 offset:17440                          // 000000009F84: D86C4420 84000009
	ds_read_b32 v133, v9 offset:21792                          // 000000009F8C: D86C5520 85000009
	ds_read_b32 v134, v9 offset:17448                          // 000000009F94: D86C4428 86000009
	ds_read_b32 v135, v9 offset:21800                          // 000000009F9C: D86C5528 87000009
	ds_read_b32 v136, v9 offset:26112                          // 000000009FA4: D86C6600 88000009
	ds_read_b32 v137, v9 offset:30464                          // 000000009FAC: D86C7700 89000009
	ds_read_b32 v138, v9 offset:26120                          // 000000009FB4: D86C6608 8A000009
	ds_read_b32 v139, v9 offset:30472                          // 000000009FBC: D86C7708 8B000009
	ds_read_b32 v140, v9 offset:26144                          // 000000009FC4: D86C6620 8C000009
	ds_read_b32 v141, v9 offset:30496                          // 000000009FCC: D86C7720 8D000009
	ds_read_b32 v142, v9 offset:26152                          // 000000009FD4: D86C6628 8E000009
	ds_read_b32 v143, v9 offset:30504                          // 000000009FDC: D86C7728 8F000009
	s_waitcnt lgkmcnt(0)                                       // 000000009FE4: BF8CC07F
	s_setvskip s20, 0                                          // 000000009FE8: BF108014
	global_atomic_pk_add_bf16 v144, v128, s[8:9]               // 000000009FEC: DD488000 00088090
	s_setvskip 0, 0                                            // 000000009FF4: BF108080
	s_setvskip s20, 0                                          // 000000009FF8: BF108014
	global_atomic_pk_add_bf16 v144, v129, s[8:9] offset:256    // 000000009FFC: DD488100 00088190
	s_setvskip 0, 0                                            // 00000000A004: BF108080
	s_setvskip s20, 1                                          // 00000000A008: BF108114
	global_atomic_pk_add_bf16 v146, v130, s[8:9]               // 00000000A00C: DD488000 00088292
	s_setvskip 0, 0                                            // 00000000A014: BF108080
	s_setvskip s20, 1                                          // 00000000A018: BF108114
	global_atomic_pk_add_bf16 v146, v131, s[8:9] offset:256    // 00000000A01C: DD488100 00088392
	s_setvskip 0, 0                                            // 00000000A024: BF108080
	s_setvskip s20, 2                                          // 00000000A028: BF108214
	global_atomic_pk_add_bf16 v148, v132, s[8:9]               // 00000000A02C: DD488000 00088494
	s_setvskip 0, 0                                            // 00000000A034: BF108080
	s_setvskip s20, 2                                          // 00000000A038: BF108214
	global_atomic_pk_add_bf16 v148, v133, s[8:9] offset:256    // 00000000A03C: DD488100 00088594
	s_setvskip 0, 0                                            // 00000000A044: BF108080
	s_setvskip s20, 3                                          // 00000000A048: BF108314
	global_atomic_pk_add_bf16 v150, v134, s[8:9]               // 00000000A04C: DD488000 00088696
	s_setvskip 0, 0                                            // 00000000A054: BF108080
	s_setvskip s20, 3                                          // 00000000A058: BF108314
	global_atomic_pk_add_bf16 v150, v135, s[8:9] offset:256    // 00000000A05C: DD488100 00088796
	s_setvskip 0, 0                                            // 00000000A064: BF108080
	s_setvskip s20, 4                                          // 00000000A068: BF108414
	global_atomic_pk_add_bf16 v152, v136, s[8:9]               // 00000000A06C: DD488000 00088898
	s_setvskip 0, 0                                            // 00000000A074: BF108080
	s_setvskip s20, 4                                          // 00000000A078: BF108414
	global_atomic_pk_add_bf16 v152, v137, s[8:9] offset:256    // 00000000A07C: DD488100 00088998
	s_setvskip 0, 0                                            // 00000000A084: BF108080
	s_setvskip s20, 5                                          // 00000000A088: BF108514
	global_atomic_pk_add_bf16 v154, v138, s[8:9]               // 00000000A08C: DD488000 00088A9A
	s_setvskip 0, 0                                            // 00000000A094: BF108080
	s_setvskip s20, 5                                          // 00000000A098: BF108514
	global_atomic_pk_add_bf16 v154, v139, s[8:9] offset:256    // 00000000A09C: DD488100 00088B9A
	s_setvskip 0, 0                                            // 00000000A0A4: BF108080
	s_setvskip s20, 6                                          // 00000000A0A8: BF108614
	global_atomic_pk_add_bf16 v156, v140, s[8:9]               // 00000000A0AC: DD488000 00088C9C
	s_setvskip 0, 0                                            // 00000000A0B4: BF108080
	s_setvskip s20, 6                                          // 00000000A0B8: BF108614
	global_atomic_pk_add_bf16 v156, v141, s[8:9] offset:256    // 00000000A0BC: DD488100 00088D9C
	s_setvskip 0, 0                                            // 00000000A0C4: BF108080
	s_setvskip s20, 7                                          // 00000000A0C8: BF108714
	global_atomic_pk_add_bf16 v158, v142, s[8:9]               // 00000000A0CC: DD488000 00088E9E
	s_setvskip 0, 0                                            // 00000000A0D4: BF108080
	s_setvskip s20, 7                                          // 00000000A0D8: BF108714
	global_atomic_pk_add_bf16 v158, v143, s[8:9] offset:256    // 00000000A0DC: DD488100 00088F9E
	s_setvskip 0, 0                                            // 00000000A0E4: BF108080

000000000000a0e8 <label_1CBA>:
	s_waitcnt vmcnt(0) expcnt(0) lgkmcnt(0)                    // 00000000A0E8: BF8C0000
	s_endpgm                                                   // 00000000A0EC: BF810000
